;; amdgpu-corpus repo=ROCm/rocFFT kind=compiled arch=gfx950 opt=O3
	.text
	.amdgcn_target "amdgcn-amd-amdhsa--gfx950"
	.amdhsa_code_object_version 6
	.protected	bluestein_single_back_len1872_dim1_half_op_CI_CI ; -- Begin function bluestein_single_back_len1872_dim1_half_op_CI_CI
	.globl	bluestein_single_back_len1872_dim1_half_op_CI_CI
	.p2align	8
	.type	bluestein_single_back_len1872_dim1_half_op_CI_CI,@function
bluestein_single_back_len1872_dim1_half_op_CI_CI: ; @bluestein_single_back_len1872_dim1_half_op_CI_CI
; %bb.0:
	s_load_dwordx4 s[8:11], s[0:1], 0x28
	v_mul_u32_u24_e32 v1, 0x1a5, v0
	v_mov_b32_e32 v19, 0
	v_add_u32_sdwa v20, s2, v1 dst_sel:DWORD dst_unused:UNUSED_PAD src0_sel:DWORD src1_sel:WORD_1
	v_mov_b32_e32 v21, v19
	s_waitcnt lgkmcnt(0)
	v_cmp_gt_u64_e32 vcc, s[8:9], v[20:21]
	s_and_saveexec_b64 s[2:3], vcc
	s_cbranch_execz .LBB0_15
; %bb.1:
	s_load_dwordx2 s[12:13], s[0:1], 0x0
	s_load_dwordx2 s[14:15], s[0:1], 0x38
	s_movk_i32 s2, 0x9c
	v_mul_lo_u16_sdwa v1, v1, s2 dst_sel:DWORD dst_unused:UNUSED_PAD src0_sel:WORD_1 src1_sel:DWORD
	v_sub_u16_e32 v18, v0, v1
	s_movk_i32 s2, 0x90
	v_cmp_gt_u16_e64 s[2:3], s2, v18
	v_lshlrev_b32_e32 v16, 2, v18
	s_and_saveexec_b64 s[8:9], s[2:3]
	s_cbranch_execz .LBB0_3
; %bb.2:
	s_load_dwordx2 s[4:5], s[0:1], 0x18
	v_mov_b32_e32 v0, s10
	v_mov_b32_e32 v1, s11
	;; [unrolled: 1-line block ×3, first 2 shown]
	s_waitcnt lgkmcnt(0)
	s_load_dwordx4 s[4:7], s[4:5], 0x0
	s_waitcnt lgkmcnt(0)
	v_mad_u64_u32 v[2:3], s[10:11], s6, v20, 0
	v_mad_u64_u32 v[4:5], s[10:11], s4, v18, 0
	v_mov_b32_e32 v6, v3
	v_mov_b32_e32 v8, v5
	v_mad_u64_u32 v[6:7], s[6:7], s7, v20, v[6:7]
	v_mov_b32_e32 v3, v6
	v_mad_u64_u32 v[6:7], s[6:7], s5, v18, v[8:9]
	v_mov_b32_e32 v5, v6
	v_lshl_add_u64 v[0:1], v[2:3], 2, v[0:1]
	v_lshl_add_u64 v[0:1], v[4:5], 2, v[0:1]
	global_load_dword v4, v[0:1], off
	v_mov_b32_e32 v5, 0x240
	global_load_dword v6, v16, s[12:13]
	v_mad_u64_u32 v[0:1], s[6:7], s4, v5, v[0:1]
	s_mul_i32 s10, s5, 0x240
	v_add_u32_e32 v1, s10, v1
	global_load_dword v7, v[0:1], off
	global_load_dword v8, v16, s[12:13] offset:576
	v_mad_u64_u32 v[0:1], s[6:7], s4, v5, v[0:1]
	v_add_u32_e32 v1, s10, v1
	global_load_dword v9, v[0:1], off
	global_load_dword v10, v16, s[12:13] offset:1152
	v_mad_u64_u32 v[0:1], s[6:7], s4, v5, v[0:1]
	;; [unrolled: 4-line block ×5, first 2 shown]
	v_add_u32_e32 v1, s10, v1
	global_load_dword v22, v16, s[12:13] offset:3456
	global_load_dword v23, v16, s[12:13] offset:4032
	global_load_dword v24, v[0:1], off
	v_mad_u64_u32 v[0:1], s[6:7], s4, v5, v[0:1]
	v_add_u32_e32 v1, s10, v1
	v_lshl_add_u64 v[2:3], s[12:13], 0, v[16:17]
	global_load_dword v17, v[0:1], off
	s_movk_i32 s5, 0x1000
	v_mad_u64_u32 v[0:1], s[6:7], s4, v5, v[0:1]
	v_add_co_u32_e32 v2, vcc, s5, v2
	v_add_u32_e32 v1, s10, v1
	s_nop 0
	v_addc_co_u32_e32 v3, vcc, 0, v3, vcc
	global_load_dword v25, v[0:1], off
	global_load_dword v26, v[2:3], off offset:512
	v_mad_u64_u32 v[0:1], s[6:7], s4, v5, v[0:1]
	v_add_u32_e32 v1, s10, v1
	global_load_dword v27, v[0:1], off
	global_load_dword v28, v[2:3], off offset:1088
	v_mad_u64_u32 v[0:1], s[6:7], s4, v5, v[0:1]
	v_add_u32_e32 v1, s10, v1
	global_load_dword v29, v[0:1], off
	global_load_dword v30, v[2:3], off offset:1664
	global_load_dword v31, v[2:3], off offset:2240
	;; [unrolled: 1-line block ×3, first 2 shown]
	v_mad_u64_u32 v[0:1], s[6:7], s4, v5, v[0:1]
	v_add_u32_e32 v1, s10, v1
	global_load_dword v2, v[0:1], off
	v_mad_u64_u32 v[0:1], s[4:5], s4, v5, v[0:1]
	v_add_u32_e32 v1, s10, v1
	global_load_dword v0, v[0:1], off
	s_waitcnt vmcnt(25)
	v_lshrrev_b32_e32 v1, 16, v4
	s_waitcnt vmcnt(24)
	v_mul_f16_sdwa v3, v6, v4 dst_sel:DWORD dst_unused:UNUSED_PAD src0_sel:WORD_1 src1_sel:DWORD
	v_mul_f16_sdwa v5, v6, v1 dst_sel:DWORD dst_unused:UNUSED_PAD src0_sel:WORD_1 src1_sel:DWORD
	v_fma_f16 v1, v6, v1, -v3
	v_fma_f16 v3, v6, v4, v5
	s_waitcnt vmcnt(23)
	v_lshrrev_b32_e32 v4, 16, v7
	s_waitcnt vmcnt(22)
	v_mul_f16_sdwa v5, v8, v7 dst_sel:DWORD dst_unused:UNUSED_PAD src0_sel:WORD_1 src1_sel:DWORD
	v_pack_b32_f16 v1, v3, v1
	v_mul_f16_sdwa v3, v8, v4 dst_sel:DWORD dst_unused:UNUSED_PAD src0_sel:WORD_1 src1_sel:DWORD
	v_fma_f16 v4, v8, v4, -v5
	v_fma_f16 v3, v8, v7, v3
	s_waitcnt vmcnt(21)
	v_lshrrev_b32_e32 v5, 16, v9
	v_pack_b32_f16 v3, v3, v4
	ds_write2_b32 v16, v1, v3 offset1:144
	s_waitcnt vmcnt(20)
	v_mul_f16_sdwa v1, v10, v5 dst_sel:DWORD dst_unused:UNUSED_PAD src0_sel:WORD_1 src1_sel:DWORD
	v_mul_f16_sdwa v3, v10, v9 dst_sel:DWORD dst_unused:UNUSED_PAD src0_sel:WORD_1 src1_sel:DWORD
	v_fma_f16 v1, v10, v9, v1
	v_fma_f16 v3, v10, v5, -v3
	v_pack_b32_f16 v1, v1, v3
	s_waitcnt vmcnt(19)
	v_lshrrev_b32_e32 v3, 16, v11
	s_waitcnt vmcnt(18)
	v_mul_f16_sdwa v4, v12, v3 dst_sel:DWORD dst_unused:UNUSED_PAD src0_sel:WORD_1 src1_sel:DWORD
	v_mul_f16_sdwa v5, v12, v11 dst_sel:DWORD dst_unused:UNUSED_PAD src0_sel:WORD_1 src1_sel:DWORD
	v_fma_f16 v4, v12, v11, v4
	v_fma_f16 v3, v12, v3, -v5
	v_pack_b32_f16 v3, v4, v3
	v_add_u32_e32 v4, 0x400, v16
	ds_write2_b32 v4, v1, v3 offset0:32 offset1:176
	s_waitcnt vmcnt(17)
	v_lshrrev_b32_e32 v1, 16, v13
	s_waitcnt vmcnt(16)
	v_mul_f16_sdwa v3, v14, v1 dst_sel:DWORD dst_unused:UNUSED_PAD src0_sel:WORD_1 src1_sel:DWORD
	v_mul_f16_sdwa v4, v14, v13 dst_sel:DWORD dst_unused:UNUSED_PAD src0_sel:WORD_1 src1_sel:DWORD
	v_fma_f16 v3, v14, v13, v3
	v_fma_f16 v1, v14, v1, -v4
	v_pack_b32_f16 v1, v3, v1
	s_waitcnt vmcnt(15)
	v_lshrrev_b32_e32 v3, 16, v15
	s_waitcnt vmcnt(14)
	v_mul_f16_sdwa v4, v21, v3 dst_sel:DWORD dst_unused:UNUSED_PAD src0_sel:WORD_1 src1_sel:DWORD
	v_mul_f16_sdwa v5, v21, v15 dst_sel:DWORD dst_unused:UNUSED_PAD src0_sel:WORD_1 src1_sel:DWORD
	v_fma_f16 v4, v21, v15, v4
	v_fma_f16 v3, v21, v3, -v5
	v_pack_b32_f16 v3, v4, v3
	v_add_u32_e32 v4, 0x800, v16
	ds_write2_b32 v4, v1, v3 offset0:64 offset1:208
	s_waitcnt vmcnt(11)
	v_lshrrev_b32_e32 v1, 16, v24
	v_mul_f16_sdwa v3, v22, v1 dst_sel:DWORD dst_unused:UNUSED_PAD src0_sel:WORD_1 src1_sel:DWORD
	v_mul_f16_sdwa v4, v22, v24 dst_sel:DWORD dst_unused:UNUSED_PAD src0_sel:WORD_1 src1_sel:DWORD
	v_fma_f16 v3, v22, v24, v3
	v_fma_f16 v1, v22, v1, -v4
	v_pack_b32_f16 v1, v3, v1
	s_waitcnt vmcnt(10)
	v_lshrrev_b32_e32 v3, 16, v17
	v_mul_f16_sdwa v4, v23, v3 dst_sel:DWORD dst_unused:UNUSED_PAD src0_sel:WORD_1 src1_sel:DWORD
	v_mul_f16_sdwa v5, v23, v17 dst_sel:DWORD dst_unused:UNUSED_PAD src0_sel:WORD_1 src1_sel:DWORD
	v_fma_f16 v4, v23, v17, v4
	v_fma_f16 v3, v23, v3, -v5
	v_pack_b32_f16 v3, v4, v3
	v_add_u32_e32 v4, 0xc00, v16
	ds_write2_b32 v4, v1, v3 offset0:96 offset1:240
	s_waitcnt vmcnt(9)
	v_lshrrev_b32_e32 v1, 16, v25
	s_waitcnt vmcnt(8)
	v_mul_f16_sdwa v3, v26, v1 dst_sel:DWORD dst_unused:UNUSED_PAD src0_sel:WORD_1 src1_sel:DWORD
	v_mul_f16_sdwa v4, v26, v25 dst_sel:DWORD dst_unused:UNUSED_PAD src0_sel:WORD_1 src1_sel:DWORD
	v_fma_f16 v3, v26, v25, v3
	v_fma_f16 v1, v26, v1, -v4
	v_pack_b32_f16 v1, v3, v1
	s_waitcnt vmcnt(7)
	v_lshrrev_b32_e32 v3, 16, v27
	s_waitcnt vmcnt(6)
	v_mul_f16_sdwa v4, v28, v3 dst_sel:DWORD dst_unused:UNUSED_PAD src0_sel:WORD_1 src1_sel:DWORD
	v_mul_f16_sdwa v5, v28, v27 dst_sel:DWORD dst_unused:UNUSED_PAD src0_sel:WORD_1 src1_sel:DWORD
	v_fma_f16 v4, v28, v27, v4
	v_fma_f16 v3, v28, v3, -v5
	v_pack_b32_f16 v3, v4, v3
	v_add_u32_e32 v4, 0x1200, v16
	ds_write2_b32 v4, v1, v3 offset1:144
	s_waitcnt vmcnt(5)
	v_lshrrev_b32_e32 v1, 16, v29
	s_waitcnt vmcnt(4)
	v_mul_f16_sdwa v3, v30, v1 dst_sel:DWORD dst_unused:UNUSED_PAD src0_sel:WORD_1 src1_sel:DWORD
	v_mul_f16_sdwa v4, v30, v29 dst_sel:DWORD dst_unused:UNUSED_PAD src0_sel:WORD_1 src1_sel:DWORD
	v_fma_f16 v3, v30, v29, v3
	v_fma_f16 v1, v30, v1, -v4
	v_pack_b32_f16 v1, v3, v1
	s_waitcnt vmcnt(1)
	v_lshrrev_b32_e32 v3, 16, v2
	v_mul_f16_sdwa v4, v31, v3 dst_sel:DWORD dst_unused:UNUSED_PAD src0_sel:WORD_1 src1_sel:DWORD
	v_fma_f16 v4, v31, v2, v4
	v_mul_f16_sdwa v2, v31, v2 dst_sel:DWORD dst_unused:UNUSED_PAD src0_sel:WORD_1 src1_sel:DWORD
	v_fma_f16 v2, v31, v3, -v2
	v_pack_b32_f16 v2, v4, v2
	v_add_u32_e32 v3, 0x1600, v16
	ds_write2_b32 v3, v1, v2 offset0:32 offset1:176
	s_waitcnt vmcnt(0)
	v_lshrrev_b32_e32 v1, 16, v0
	v_mul_f16_sdwa v2, v32, v1 dst_sel:DWORD dst_unused:UNUSED_PAD src0_sel:WORD_1 src1_sel:DWORD
	v_fma_f16 v2, v32, v0, v2
	v_mul_f16_sdwa v0, v32, v0 dst_sel:DWORD dst_unused:UNUSED_PAD src0_sel:WORD_1 src1_sel:DWORD
	v_fma_f16 v0, v32, v1, -v0
	v_pack_b32_f16 v0, v2, v0
	ds_write_b32 v16, v0 offset:6912
.LBB0_3:
	s_or_b64 exec, exec, s[8:9]
	s_load_dwordx2 s[6:7], s[0:1], 0x20
	s_load_dwordx2 s[4:5], s[0:1], 0x8
	v_mov_b32_e32 v0, 0
	s_waitcnt lgkmcnt(0)
	s_barrier
	s_waitcnt lgkmcnt(0)
                                        ; implicit-def: $vgpr27
                                        ; implicit-def: $vgpr23
                                        ; implicit-def: $vgpr11
                                        ; implicit-def: $vgpr24
                                        ; implicit-def: $vgpr26
                                        ; implicit-def: $vgpr9
                                        ; implicit-def: $vgpr28
                                        ; implicit-def: $vgpr29
                                        ; implicit-def: $vgpr5
                                        ; implicit-def: $vgpr25
                                        ; implicit-def: $vgpr12
                                        ; implicit-def: $vgpr3
                                        ; implicit-def: $vgpr13
                                        ; implicit-def: $vgpr15
                                        ; implicit-def: $vgpr7
                                        ; implicit-def: $vgpr17
                                        ; implicit-def: $vgpr22
                                        ; implicit-def: $vgpr14
	s_and_saveexec_b64 s[0:1], s[2:3]
	s_cbranch_execz .LBB0_5
; %bb.4:
	v_add_u32_e32 v2, 0x400, v16
	v_add_u32_e32 v3, 0x800, v16
	v_add_u32_e32 v4, 0xc00, v16
	v_add_u32_e32 v8, 0x1200, v16
	v_add_u32_e32 v10, 0x1600, v16
	ds_read2_b32 v[0:1], v16 offset1:144
	ds_read2_b32 v[6:7], v2 offset0:32 offset1:176
	ds_read2_b32 v[2:3], v3 offset0:64 offset1:208
	;; [unrolled: 1-line block ×3, first 2 shown]
	ds_read2_b32 v[8:9], v8 offset1:144
	ds_read2_b32 v[10:11], v10 offset0:32 offset1:176
	ds_read_b32 v27, v16 offset:6912
	s_waitcnt lgkmcnt(6)
	v_lshrrev_b32_e32 v14, 16, v1
	s_waitcnt lgkmcnt(5)
	v_lshrrev_b32_e32 v22, 16, v6
	v_lshrrev_b32_e32 v17, 16, v7
	s_waitcnt lgkmcnt(4)
	v_lshrrev_b32_e32 v15, 16, v2
	;; [unrolled: 3-line block ×6, first 2 shown]
.LBB0_5:
	s_or_b64 exec, exec, s[0:1]
	v_sub_f16_e32 v49, v1, v27
	v_add_f16_e32 v33, v23, v14
	v_sub_f16_e32 v62, v14, v23
	s_movk_i32 s8, 0x3b15
	v_mul_f16_e32 v36, 0xb770, v49
	v_add_f16_e32 v31, v27, v1
	v_mul_f16_e32 v30, 0xb770, v62
	v_fma_f16 v32, v33, s8, -v36
	v_sub_f16_e32 v63, v22, v24
	v_fma_f16 v21, v31, s8, v30
	v_add_f16_sdwa v34, v32, v0 dst_sel:DWORD dst_unused:UNUSED_PAD src0_sel:DWORD src1_sel:WORD_1
	v_add_f16_e32 v35, v11, v6
	v_sub_f16_e32 v54, v6, v11
	s_movk_i32 s9, 0x388b
	v_mul_f16_e32 v32, 0xba95, v63
	v_add_f16_e32 v21, v21, v0
	v_add_f16_e32 v37, v24, v22
	v_mul_f16_e32 v40, 0xba95, v54
	v_fma_f16 v38, v35, s9, v32
	v_add_f16_e32 v21, v38, v21
	v_fma_f16 v38, v37, s9, -v40
	v_sub_f16_e32 v64, v17, v26
	v_add_f16_e32 v38, v38, v34
	v_add_f16_e32 v39, v10, v7
	v_sub_f16_e32 v56, v7, v10
	s_movk_i32 s10, 0x2fb7
	v_mul_f16_e32 v34, 0xbbf1, v64
	v_add_f16_e32 v41, v26, v17
	v_mul_f16_e32 v45, 0xbbf1, v56
	v_fma_f16 v42, v39, s10, v34
	v_add_f16_e32 v21, v42, v21
	v_fma_f16 v42, v41, s10, -v45
	v_sub_f16_e32 v65, v15, v28
	v_add_f16_e32 v42, v42, v38
	v_add_f16_e32 v46, v9, v2
	v_sub_f16_e32 v59, v2, v9
	s_mov_b32 s11, 0xb5ac
	v_mul_f16_e32 v38, 0xbb7b, v65
	v_add_f16_e32 v47, v28, v15
	v_mul_f16_e32 v48, 0xbb7b, v59
	v_fma_f16 v43, v46, s11, v38
	v_sub_f16_e32 v66, v13, v29
	v_add_f16_e32 v21, v43, v21
	v_fma_f16 v43, v47, s11, -v48
	v_add_f16_e32 v51, v8, v3
	v_sub_f16_e32 v60, v3, v8
	s_mov_b32 s16, 0xb9fd
	v_mul_f16_e32 v44, 0xb94e, v66
	v_add_f16_e32 v42, v43, v42
	v_add_f16_e32 v52, v29, v13
	v_mul_f16_e32 v53, 0xb94e, v60
	v_fma_f16 v43, v51, s16, v44
	v_sub_f16_e32 v67, v12, v25
	v_add_f16_e32 v21, v43, v21
	v_fma_f16 v43, v52, s16, -v53
	v_add_f16_e32 v55, v5, v4
	s_mov_b32 s17, 0xbbc4
	v_mul_f16_e32 v50, 0xb3a8, v67
	v_sub_f16_e32 v61, v4, v5
	v_add_f16_e32 v42, v43, v42
	v_fma_f16 v43, v55, s17, v50
	v_add_f16_e32 v58, v25, v12
	v_mul_f16_e32 v57, 0xb3a8, v61
	v_add_f16_e32 v43, v43, v21
	v_fma_f16 v21, v58, s17, -v57
	v_add_f16_e32 v42, v21, v42
	s_mov_b32 s28, 0xb770
	s_mov_b32 s19, 0xba95
	;; [unrolled: 1-line block ×6, first 2 shown]
	v_mul_lo_u16_e32 v21, 13, v18
	s_barrier
	s_and_saveexec_b64 s[0:1], s[2:3]
	s_cbranch_execz .LBB0_7
; %bb.6:
	v_mul_f16_e32 v68, 0x388b, v33
	s_movk_i32 s25, 0x3a95
	v_fma_f16 v69, v49, s25, v68
	v_mul_f16_e32 v70, 0xb5ac, v37
	s_movk_i32 s23, 0x3b7b
	v_add_f16_sdwa v69, v69, v0 dst_sel:DWORD dst_unused:UNUSED_PAD src0_sel:DWORD src1_sel:WORD_1
	v_fma_f16 v71, v54, s23, v70
	v_add_f16_e32 v69, v71, v69
	v_mul_f16_e32 v71, 0xbbc4, v41
	s_movk_i32 s26, 0x33a8
	v_fma_f16 v72, v56, s26, v71
	v_add_f16_e32 v69, v72, v69
	v_mul_f16_e32 v72, 0xb9fd, v47
	v_fma_f16 v73, v59, s21, v72
	v_add_f16_e32 v69, v73, v69
	v_mul_f16_e32 v73, 0x2fb7, v52
	;; [unrolled: 3-line block ×4, first 2 shown]
	v_fma_f16 v76, v31, s9, v75
	v_mul_f16_e32 v77, 0xbb7b, v63
	v_add_f16_e32 v76, v76, v0
	v_fma_f16 v78, v35, s11, v77
	v_add_f16_e32 v76, v78, v76
	v_mul_f16_e32 v78, 0xb3a8, v64
	v_fma_f16 v79, v39, s17, v78
	v_add_f16_e32 v76, v79, v76
	v_mul_f16_e32 v79, 0x394e, v65
	v_fma_f16 v80, v46, s16, v79
	v_add_f16_e32 v76, v80, v76
	v_mul_f16_e32 v80, 0x3bf1, v66
	v_fma_f16 v81, v51, s10, v80
	v_add_f16_e32 v76, v81, v76
	v_mul_f16_e32 v81, 0x3770, v67
	v_fma_f16 v82, v55, s8, v81
	v_add_f16_e32 v76, v82, v76
	s_movk_i32 s24, 0x3bf1
	v_mul_f16_e32 v82, 0x2fb7, v33
	v_fma_f16 v83, v49, s24, v82
	v_mul_f16_e32 v84, 0xbbc4, v37
	v_add_f16_sdwa v83, v83, v0 dst_sel:DWORD dst_unused:UNUSED_PAD src0_sel:DWORD src1_sel:WORD_1
	v_fma_f16 v85, v54, s26, v84
	v_add_f16_e32 v83, v85, v83
	v_mul_f16_e32 v85, 0xb5ac, v41
	v_fma_f16 v86, v56, s20, v85
	v_add_f16_e32 v83, v86, v83
	v_mul_f16_e32 v86, 0x3b15, v47
	;; [unrolled: 3-line block ×3, first 2 shown]
	v_fma_f16 v88, v60, s25, v87
	v_add_f16_e32 v83, v88, v83
	s_movk_i32 s27, 0x394e
	v_mul_f16_e32 v88, 0xb9fd, v58
	v_fma_f16 v89, v61, s27, v88
	v_add_f16_e32 v83, v89, v83
	v_mul_f16_e32 v89, 0xbbf1, v62
	v_fma_f16 v90, v31, s10, v89
	v_mul_f16_e32 v91, 0xb3a8, v63
	v_add_f16_e32 v90, v90, v0
	v_fma_f16 v92, v35, s17, v91
	v_add_f16_e32 v90, v92, v90
	v_mul_f16_e32 v92, 0x3b7b, v64
	v_fma_f16 v93, v39, s11, v92
	v_add_f16_e32 v90, v93, v90
	v_mul_f16_e32 v93, 0x3770, v65
	v_fma_f16 v94, v46, s8, v93
	v_add_f16_e32 v90, v94, v90
	v_mul_f16_e32 v94, 0xba95, v66
	v_fma_f16 v95, v51, s9, v94
	v_add_f16_e32 v90, v95, v90
	v_mul_f16_e32 v95, 0xb94e, v67
	v_fma_f16 v96, v55, s16, v95
	v_add_f16_e32 v90, v96, v90
	v_mul_f16_e32 v96, 0xb5ac, v33
	v_fma_f16 v97, v49, s23, v96
	v_mul_f16_e32 v98, 0xb9fd, v37
	v_add_f16_sdwa v97, v97, v0 dst_sel:DWORD dst_unused:UNUSED_PAD src0_sel:DWORD src1_sel:WORD_1
	v_fma_f16 v99, v54, s21, v98
	v_add_f16_e32 v97, v99, v97
	v_mul_f16_e32 v99, 0x3b15, v41
	v_fma_f16 v100, v56, s28, v99
	v_add_f16_e32 v97, v100, v97
	v_mul_f16_e32 v100, 0x2fb7, v47
	v_fma_f16 v101, v59, s24, v100
	v_add_f16_e32 v97, v101, v97
	v_mul_f16_e32 v101, 0xbbc4, v52
	v_fma_f16 v102, v60, s18, v101
	v_add_f16_e32 v97, v102, v97
	v_mul_f16_e32 v102, 0x388b, v58
	v_fma_f16 v103, v61, s19, v102
	v_add_f16_e32 v97, v103, v97
	v_mul_f16_e32 v103, 0xbb7b, v62
	v_fma_f16 v104, v31, s11, v103
	v_mul_f16_e32 v105, 0x394e, v63
	v_add_f16_e32 v104, v104, v0
	v_fma_f16 v106, v35, s16, v105
	v_add_f16_e32 v104, v106, v104
	v_mul_f16_e32 v106, 0x3770, v64
	v_fma_f16 v107, v39, s8, v106
	v_add_f16_e32 v104, v107, v104
	v_mul_f16_e32 v107, 0xbbf1, v65
	v_fma_f16 v108, v46, s10, v107
	v_add_f16_e32 v104, v108, v104
	v_mul_f16_e32 v108, 0x33a8, v66
	v_fma_f16 v109, v51, s17, v108
	v_add_f16_e32 v104, v109, v104
	v_mul_f16_e32 v109, 0x3a95, v67
	v_fma_f16 v110, v55, s9, v109
	v_add_f16_e32 v104, v110, v104
	v_mul_f16_e32 v110, 0xb9fd, v33
	v_fma_f16 v111, v49, s27, v110
	v_mul_f16_e32 v112, 0x2fb7, v37
	v_add_f16_sdwa v111, v111, v0 dst_sel:DWORD dst_unused:UNUSED_PAD src0_sel:DWORD src1_sel:WORD_1
	v_fma_f16 v113, v54, s22, v112
	v_add_f16_e32 v111, v113, v111
	v_mul_f16_e32 v113, 0x388b, v41
	v_fma_f16 v114, v56, s25, v113
	v_add_f16_e32 v111, v114, v111
	v_mul_f16_e32 v114, 0xbbc4, v47
	v_fma_f16 v115, v59, s18, v114
	v_add_f16_e32 v111, v115, v111
	v_mul_f16_e32 v115, 0x3b15, v52
	v_fma_f16 v116, v60, s28, v115
	v_add_f16_e32 v111, v116, v111
	;; [unrolled: 36-line block ×3, first 2 shown]
	v_mul_f16_e32 v130, 0x2fb7, v58
	v_fma_f16 v131, v61, s22, v130
	v_mul_f16_e32 v62, 0xb3a8, v62
	v_add_f16_e32 v125, v131, v125
	v_fma_f16 v131, v31, s17, v62
	v_mul_f16_e32 v63, 0x3770, v63
	v_fma_f16 v62, v31, s17, -v62
	v_fma_f16 v132, v35, s8, v63
	v_mul_f16_e32 v64, 0xb94e, v64
	v_add_f16_e32 v62, v62, v0
	v_fma_f16 v63, v35, s8, -v63
	v_mul_f16_e32 v65, 0x3a95, v65
	v_add_f16_e32 v62, v63, v62
	v_fma_f16 v63, v39, s16, -v64
	;; [unrolled: 3-line block ×4, first 2 shown]
	v_add_f16_e32 v62, v63, v62
	v_fma_f16 v63, v55, s10, -v67
	v_add_f16_e32 v131, v131, v0
	v_add_f16_e32 v62, v63, v62
	v_fma_f16 v63, v49, s21, v110
	v_add_f16_e32 v131, v132, v131
	v_fma_f16 v132, v39, s16, v64
	v_add_f16_sdwa v63, v63, v0 dst_sel:DWORD dst_unused:UNUSED_PAD src0_sel:DWORD src1_sel:WORD_1
	v_fma_f16 v64, v54, s24, v112
	v_add_f16_e32 v63, v64, v63
	v_fma_f16 v64, v56, s19, v113
	s_movk_i32 s28, 0x3770
	v_add_f16_e32 v63, v64, v63
	v_fma_f16 v64, v59, s26, v114
	v_add_f16_e32 v63, v64, v63
	v_fma_f16 v64, v60, s28, v115
	;; [unrolled: 2-line block ×3, first 2 shown]
	v_add_f16_e32 v63, v64, v63
	v_fma_f16 v64, v31, s16, -v117
	v_add_f16_e32 v131, v132, v131
	v_fma_f16 v132, v46, s9, v65
	v_add_f16_e32 v64, v64, v0
	v_fma_f16 v65, v35, s10, -v119
	v_add_f16_e32 v64, v65, v64
	v_fma_f16 v65, v39, s9, -v120
	;; [unrolled: 2-line block ×5, first 2 shown]
	v_add_f16_e32 v64, v65, v64
	v_fma_f16 v65, v49, s20, v96
	v_add_f16_e32 v131, v132, v131
	v_fma_f16 v132, v51, s11, v66
	v_add_f16_sdwa v65, v65, v0 dst_sel:DWORD dst_unused:UNUSED_PAD src0_sel:DWORD src1_sel:WORD_1
	v_fma_f16 v66, v54, s27, v98
	v_add_f16_e32 v65, v66, v65
	v_fma_f16 v66, v56, s28, v99
	v_add_f16_e32 v65, v66, v65
	;; [unrolled: 2-line block ×5, first 2 shown]
	v_fma_f16 v66, v31, s11, -v103
	v_add_f16_e32 v131, v132, v131
	v_fma_f16 v132, v55, s10, v67
	v_add_f16_e32 v66, v66, v0
	v_fma_f16 v67, v35, s16, -v105
	v_add_f16_e32 v66, v67, v66
	v_fma_f16 v67, v39, s8, -v106
	;; [unrolled: 2-line block ×5, first 2 shown]
	v_fma_f16 v124, v49, s18, v124
	v_add_f16_e32 v66, v67, v66
	v_fma_f16 v67, v49, s22, v82
	v_fma_f16 v49, v49, s19, v68
	;; [unrolled: 1-line block ×3, first 2 shown]
	v_add_f16_sdwa v67, v67, v0 dst_sel:DWORD dst_unused:UNUSED_PAD src0_sel:DWORD src1_sel:WORD_1
	v_fma_f16 v82, v54, s18, v84
	v_fma_f16 v54, v54, s20, v70
	v_add_f16_sdwa v49, v49, v0 dst_sel:DWORD dst_unused:UNUSED_PAD src0_sel:DWORD src1_sel:WORD_1
	v_add_f16_e32 v67, v82, v67
	v_fma_f16 v82, v56, s23, v85
	v_add_f16_e32 v49, v54, v49
	v_fma_f16 v54, v56, s18, v71
	;; [unrolled: 2-line block ×8, first 2 shown]
	v_add_f16_e32 v67, v82, v67
	v_fma_f16 v82, v31, s10, -v89
	v_add_f16_e32 v49, v54, v49
	v_fma_f16 v54, v31, s9, -v75
	v_mul_f16_e32 v33, 0x3b15, v33
	v_mul_f16_e32 v31, 0x3b15, v31
	v_add_f16_e32 v33, v36, v33
	v_sub_f16_e32 v30, v31, v30
	v_add_f16_sdwa v124, v124, v0 dst_sel:DWORD dst_unused:UNUSED_PAD src0_sel:DWORD src1_sel:WORD_1
	v_add_f16_e32 v82, v82, v0
	v_add_f16_e32 v54, v54, v0
	v_add_f16_sdwa v33, v33, v0 dst_sel:DWORD dst_unused:UNUSED_PAD src0_sel:DWORD src1_sel:WORD_1
	v_add_f16_e32 v30, v30, v0
	v_add_f16_e32 v1, v1, v0
	;; [unrolled: 3-line block ×3, first 2 shown]
	v_add_f16_e32 v1, v7, v1
	v_add_f16_e32 v0, v17, v0
	;; [unrolled: 1-line block ×4, first 2 shown]
	v_mul_f16_e32 v36, 0x388b, v37
	v_add_f16_e32 v1, v3, v1
	v_add_f16_e32 v0, v13, v0
	;; [unrolled: 1-line block ×3, first 2 shown]
	v_fma_f16 v126, v56, s21, v127
	v_fma_f16 v84, v35, s17, -v91
	v_fma_f16 v56, v35, s11, -v77
	v_add_f16_e32 v36, v40, v36
	v_mul_f16_e32 v35, 0x388b, v35
	v_add_f16_e32 v1, v4, v1
	v_add_f16_e32 v0, v12, v0
	;; [unrolled: 1-line block ×3, first 2 shown]
	v_mul_f16_e32 v36, 0x2fb7, v41
	v_mul_f16_e32 v37, 0x2fb7, v39
	v_sub_f16_e32 v31, v35, v32
	v_add_f16_e32 v1, v5, v1
	v_add_f16_e32 v0, v25, v0
	;; [unrolled: 1-line block ×3, first 2 shown]
	v_fma_f16 v84, v39, s11, -v92
	v_add_f16_e32 v54, v56, v54
	v_fma_f16 v56, v39, s17, -v78
	v_add_f16_e32 v36, v45, v36
	v_mul_f16_e32 v39, 0xb5ac, v46
	v_mul_f16_e32 v40, 0xb5ac, v47
	v_add_f16_e32 v30, v31, v30
	v_sub_f16_e32 v31, v37, v34
	v_add_f16_e32 v1, v8, v1
	v_add_f16_e32 v0, v29, v0
	v_mul_f16_e32 v41, 0xb9fd, v51
	v_mul_f16_e32 v45, 0xb9fd, v52
	v_add_f16_e32 v33, v36, v33
	v_add_f16_e32 v36, v48, v40
	;; [unrolled: 1-line block ×3, first 2 shown]
	v_sub_f16_e32 v31, v39, v38
	v_add_f16_e32 v1, v9, v1
	v_add_f16_e32 v0, v28, v0
	;; [unrolled: 1-line block ×3, first 2 shown]
	v_fma_f16 v84, v46, s8, -v93
	v_add_f16_e32 v54, v56, v54
	v_fma_f16 v56, v46, s16, -v79
	v_mul_f16_e32 v46, 0xbbc4, v55
	v_mul_f16_e32 v47, 0xbbc4, v58
	v_add_f16_e32 v33, v36, v33
	v_add_f16_e32 v36, v53, v45
	;; [unrolled: 1-line block ×3, first 2 shown]
	v_sub_f16_e32 v31, v41, v44
	v_add_f16_e32 v1, v10, v1
	v_add_f16_e32 v0, v26, v0
	;; [unrolled: 1-line block ×3, first 2 shown]
	v_fma_f16 v84, v51, s9, -v94
	v_add_f16_e32 v54, v56, v54
	v_fma_f16 v56, v51, s10, -v80
	v_add_f16_e32 v33, v36, v33
	v_add_f16_e32 v36, v57, v47
	;; [unrolled: 1-line block ×3, first 2 shown]
	v_sub_f16_e32 v31, v46, v50
	v_add_f16_e32 v1, v11, v1
	v_add_f16_e32 v0, v24, v0
	;; [unrolled: 1-line block ×3, first 2 shown]
	v_fma_f16 v126, v59, s25, v128
	v_add_f16_e32 v82, v84, v82
	v_fma_f16 v84, v55, s16, -v95
	v_add_f16_e32 v54, v56, v54
	v_fma_f16 v56, v55, s8, -v81
	v_add_f16_e32 v33, v36, v33
	v_add_f16_e32 v30, v31, v30
	;; [unrolled: 1-line block ×5, first 2 shown]
	v_fma_f16 v126, v60, s20, v129
	v_add_f16_e32 v82, v84, v82
	v_add_f16_e32 v54, v56, v54
	v_lshlrev_b32_e32 v2, 2, v21
	v_pack_b32_f16 v3, v30, v33
	v_pack_b32_f16 v0, v1, v0
	v_add_f16_e32 v124, v126, v124
	v_fma_f16 v126, v61, s24, v130
	ds_write2_b32 v2, v0, v3 offset1:1
	v_pack_b32_f16 v0, v82, v67
	v_pack_b32_f16 v1, v54, v49
	v_add_f16_e32 v131, v132, v131
	v_add_f16_e32 v124, v126, v124
	ds_write2_b32 v2, v1, v0 offset0:2 offset1:3
	v_pack_b32_f16 v0, v64, v63
	v_pack_b32_f16 v1, v66, v65
	ds_write2_b32 v2, v1, v0 offset0:4 offset1:5
	v_pack_b32_f16 v0, v131, v125
	v_pack_b32_f16 v1, v62, v124
	;; [unrolled: 3-line block ×4, first 2 shown]
	s_mov_b32 s8, 0x5040100
	ds_write2_b32 v2, v1, v0 offset0:10 offset1:11
	v_perm_b32 v0, v42, v43, s8
	ds_write_b32 v2, v0 offset:48
.LBB0_7:
	s_or_b64 exec, exec, s[0:1]
	s_mov_b64 s[0:1], 0x9c
	v_lshl_add_u64 v[2:3], v[18:19], 0, s[0:1]
	s_mov_b64 s[0:1], 0x138
	v_lshl_add_u64 v[0:1], v[18:19], 0, s[0:1]
	s_movk_i32 s0, 0x4f
	v_mul_lo_u16_sdwa v1, v18, s0 dst_sel:DWORD dst_unused:UNUSED_PAD src0_sel:BYTE_0 src1_sel:DWORD
	v_lshrrev_b16_e32 v1, 10, v1
	v_mul_lo_u16_e32 v3, 13, v1
	s_load_dwordx4 s[8:11], s[6:7], 0x0
	v_sub_u16_e32 v3, v18, v3
	s_movk_i32 s6, 0x4ec5
	v_and_b32_e32 v3, 0xff, v3
	v_mul_u32_u24_sdwa v5, v2, s6 dst_sel:DWORD dst_unused:UNUSED_PAD src0_sel:WORD_0 src1_sel:DWORD
	v_lshlrev_b32_e32 v4, 3, v3
	v_lshrrev_b32_e32 v6, 18, v5
	s_waitcnt lgkmcnt(0)
	s_barrier
	global_load_dwordx2 v[22:23], v4, s[4:5]
	v_mul_lo_u16_e32 v4, 13, v6
	v_mul_u32_u24_sdwa v5, v0, s6 dst_sel:DWORD dst_unused:UNUSED_PAD src0_sel:WORD_0 src1_sel:DWORD
	v_sub_u16_e32 v10, v2, v4
	v_lshrrev_b32_e32 v34, 18, v5
	v_lshlrev_b16_e32 v4, 1, v10
	v_mul_lo_u16_e32 v5, 13, v34
	v_lshlrev_b32_e32 v4, 2, v4
	v_sub_u16_e32 v35, v0, v5
	global_load_dwordx2 v[26:27], v4, s[4:5]
	v_lshlrev_b16_e32 v4, 1, v35
	v_lshlrev_b32_e32 v4, 2, v4
	s_mov_b64 s[0:1], 0x1d4
	global_load_dwordx2 v[24:25], v4, s[4:5]
	v_lshl_add_u64 v[4:5], v[18:19], 0, s[0:1]
	v_mul_u32_u24_sdwa v5, v4, s6 dst_sel:DWORD dst_unused:UNUSED_PAD src0_sel:WORD_0 src1_sel:DWORD
	v_lshrrev_b32_e32 v36, 18, v5
	v_mul_lo_u16_e32 v5, 13, v36
	v_sub_u16_e32 v37, v4, v5
	v_lshlrev_b16_e32 v4, 1, v37
	v_lshlrev_b32_e32 v4, 2, v4
	global_load_dwordx2 v[28:29], v4, s[4:5]
	v_mov_b32_e32 v4, 2
	v_lshlrev_b32_sdwa v11, v4, v18 dst_sel:DWORD dst_unused:UNUSED_PAD src0_sel:DWORD src1_sel:WORD_0
	v_add_u32_e32 v7, 0x900, v11
	ds_read2_b32 v[4:5], v11 offset1:156
	v_add_u32_e32 v69, 0x1200, v11
	v_add_u32_e32 v70, 0x400, v11
	;; [unrolled: 1-line block ×4, first 2 shown]
	ds_read2_b32 v[8:9], v7 offset0:48 offset1:204
	ds_read2_b32 v[12:13], v69 offset0:96 offset1:252
	;; [unrolled: 1-line block ×5, first 2 shown]
	s_waitcnt lgkmcnt(4)
	v_lshrrev_b32_e32 v39, 16, v8
	v_lshrrev_b32_e32 v41, 16, v9
	s_waitcnt lgkmcnt(3)
	v_lshrrev_b32_e32 v40, 16, v12
	s_waitcnt lgkmcnt(1)
	;; [unrolled: 2-line block ×3, first 2 shown]
	v_lshrrev_b32_e32 v47, 16, v32
	v_lshrrev_b32_e32 v50, 16, v33
	;; [unrolled: 1-line block ×4, first 2 shown]
	s_movk_i32 s1, 0x3aee
	s_mov_b32 s0, 0xbaee
	v_lshrrev_b32_e32 v38, 16, v5
	v_lshrrev_b32_e32 v46, 16, v30
	v_lshrrev_b32_e32 v45, 16, v14
	v_lshrrev_b32_e32 v48, 16, v15
	v_mul_u32_u24_e32 v1, 39, v1
	s_barrier
	s_movk_i32 s6, 0xa5
	s_waitcnt vmcnt(3)
	v_mul_f16_sdwa v51, v39, v22 dst_sel:DWORD dst_unused:UNUSED_PAD src0_sel:DWORD src1_sel:WORD_1
	v_mul_f16_sdwa v52, v8, v22 dst_sel:DWORD dst_unused:UNUSED_PAD src0_sel:DWORD src1_sel:WORD_1
	v_fma_f16 v8, v8, v22, -v51
	v_fma_f16 v39, v39, v22, v52
	v_mul_f16_sdwa v53, v40, v23 dst_sel:DWORD dst_unused:UNUSED_PAD src0_sel:DWORD src1_sel:WORD_1
	v_mul_f16_sdwa v54, v12, v23 dst_sel:DWORD dst_unused:UNUSED_PAD src0_sel:DWORD src1_sel:WORD_1
	v_fma_f16 v12, v12, v23, -v53
	v_fma_f16 v40, v40, v23, v54
	s_waitcnt vmcnt(2)
	v_mul_f16_sdwa v51, v41, v26 dst_sel:DWORD dst_unused:UNUSED_PAD src0_sel:DWORD src1_sel:WORD_1
	v_mul_f16_sdwa v52, v9, v26 dst_sel:DWORD dst_unused:UNUSED_PAD src0_sel:DWORD src1_sel:WORD_1
	v_fma_f16 v9, v9, v26, -v51
	v_fma_f16 v41, v41, v26, v52
	s_waitcnt vmcnt(1)
	v_mul_f16_sdwa v57, v47, v25 dst_sel:DWORD dst_unused:UNUSED_PAD src0_sel:DWORD src1_sel:WORD_1
	v_fma_f16 v51, v32, v25, -v57
	v_mul_f16_sdwa v32, v32, v25 dst_sel:DWORD dst_unused:UNUSED_PAD src0_sel:DWORD src1_sel:WORD_1
	v_fma_f16 v32, v47, v25, v32
	v_add_f16_e32 v52, v8, v12
	v_mul_f16_sdwa v53, v44, v27 dst_sel:DWORD dst_unused:UNUSED_PAD src0_sel:DWORD src1_sel:WORD_1
	v_mul_f16_sdwa v54, v13, v27 dst_sel:DWORD dst_unused:UNUSED_PAD src0_sel:DWORD src1_sel:WORD_1
	v_fma_f16 v13, v13, v27, -v53
	s_waitcnt vmcnt(0)
	v_mul_f16_sdwa v47, v49, v28 dst_sel:DWORD dst_unused:UNUSED_PAD src0_sel:DWORD src1_sel:WORD_1
	v_fma_f16 v47, v31, v28, -v47
	v_mul_f16_sdwa v31, v31, v28 dst_sel:DWORD dst_unused:UNUSED_PAD src0_sel:DWORD src1_sel:WORD_1
	v_fma_f16 v31, v49, v28, v31
	v_mul_f16_sdwa v49, v50, v29 dst_sel:DWORD dst_unused:UNUSED_PAD src0_sel:DWORD src1_sel:WORD_1
	v_fma_f16 v49, v33, v29, -v49
	v_mul_f16_sdwa v33, v33, v29 dst_sel:DWORD dst_unused:UNUSED_PAD src0_sel:DWORD src1_sel:WORD_1
	v_fma_f16 v33, v50, v29, v33
	v_add_f16_e32 v50, v4, v8
	v_fma_f16 v4, v52, -0.5, v4
	v_sub_f16_e32 v52, v39, v40
	v_fma_f16 v53, v52, s1, v4
	v_fma_f16 v4, v52, s0, v4
	v_add_f16_e32 v52, v19, v39
	v_add_f16_e32 v39, v39, v40
	v_fma_f16 v19, v39, -0.5, v19
	v_sub_f16_e32 v8, v8, v12
	v_add_f16_e32 v50, v50, v12
	v_fma_f16 v12, v8, s0, v19
	v_fma_f16 v8, v8, s1, v19
	v_add_f16_e32 v19, v5, v9
	v_fma_f16 v44, v44, v27, v54
	v_add_f16_e32 v39, v19, v13
	v_add_f16_e32 v19, v9, v13
	v_fma_f16 v5, v19, -0.5, v5
	v_sub_f16_e32 v19, v41, v44
	v_add_f16_e32 v52, v52, v40
	v_fma_f16 v40, v19, s1, v5
	v_fma_f16 v5, v19, s0, v5
	v_add_f16_e32 v19, v38, v41
	v_mul_f16_sdwa v55, v46, v24 dst_sel:DWORD dst_unused:UNUSED_PAD src0_sel:DWORD src1_sel:WORD_1
	v_add_f16_e32 v54, v19, v44
	v_add_f16_e32 v19, v41, v44
	v_mul_f16_sdwa v56, v30, v24 dst_sel:DWORD dst_unused:UNUSED_PAD src0_sel:DWORD src1_sel:WORD_1
	v_fma_f16 v30, v30, v24, -v55
	v_fma_f16 v19, v19, -0.5, v38
	v_sub_f16_e32 v9, v9, v13
	v_fma_f16 v13, v9, s0, v19
	v_fma_f16 v9, v9, s1, v19
	v_add_f16_e32 v19, v14, v30
	v_fma_f16 v46, v46, v24, v56
	v_add_f16_e32 v38, v19, v51
	v_add_f16_e32 v19, v30, v51
	v_fma_f16 v14, v19, -0.5, v14
	v_sub_f16_e32 v19, v46, v32
	v_fma_f16 v41, v19, s1, v14
	v_fma_f16 v14, v19, s0, v14
	v_add_f16_e32 v19, v45, v46
	v_add_f16_e32 v55, v19, v32
	v_add_f16_e32 v19, v46, v32
	v_fma_f16 v19, v19, -0.5, v45
	v_sub_f16_e32 v30, v30, v51
	v_fma_f16 v32, v30, s0, v19
	v_fma_f16 v30, v30, s1, v19
	v_add_f16_e32 v19, v15, v47
	;; [unrolled: 7-line block ×3, first 2 shown]
	v_add_f16_e32 v57, v19, v33
	v_add_f16_e32 v19, v31, v33
	v_fma_f16 v19, v19, -0.5, v48
	v_sub_f16_e32 v31, v47, v49
	v_fma_f16 v33, v31, s0, v19
	v_fma_f16 v31, v31, s1, v19
	v_add_lshl_u32 v19, v1, v3, 2
	v_pack_b32_f16 v1, v50, v52
	v_pack_b32_f16 v3, v53, v12
	ds_write2_b32 v19, v1, v3 offset1:13
	v_pack_b32_f16 v1, v4, v8
	ds_write_b32 v19, v1 offset:104
	v_mad_legacy_u16 v1, v6, 39, v10
	v_lshlrev_b32_e32 v44, 2, v1
	v_pack_b32_f16 v1, v39, v54
	v_pack_b32_f16 v3, v40, v13
	ds_write2_b32 v44, v1, v3 offset1:13
	v_pack_b32_f16 v1, v5, v9
	ds_write_b32 v44, v1 offset:104
	v_mad_legacy_u16 v1, v34, 39, v35
	v_lshlrev_b32_e32 v45, 2, v1
	;; [unrolled: 7-line block ×3, first 2 shown]
	v_pack_b32_f16 v1, v51, v57
	v_pack_b32_f16 v3, v56, v33
	ds_write2_b32 v46, v1, v3 offset1:13
	v_pack_b32_f16 v1, v15, v31
	ds_write_b32 v46, v1 offset:104
	v_mul_lo_u16_sdwa v1, v18, s6 dst_sel:DWORD dst_unused:UNUSED_PAD src0_sel:BYTE_0 src1_sel:DWORD
	v_sub_u16_sdwa v3, v18, v1 dst_sel:DWORD dst_unused:UNUSED_PAD src0_sel:DWORD src1_sel:BYTE_1
	v_lshrrev_b16_e32 v3, 1, v3
	v_and_b32_e32 v3, 0x7f, v3
	v_add_u16_sdwa v1, v3, v1 dst_sel:DWORD dst_unused:UNUSED_PAD src0_sel:DWORD src1_sel:BYTE_1
	v_lshrrev_b16_e32 v1, 5, v1
	v_and_b32_e32 v38, 7, v1
	v_mul_lo_u16_e32 v1, 39, v38
	v_sub_u16_e32 v1, v18, v1
	v_and_b32_e32 v39, 0xff, v1
	v_mad_u64_u32 v[4:5], s[6:7], v39, 12, s[4:5]
	s_mov_b32 s6, 0xa41b
	s_nop 0
	v_mul_u32_u24_sdwa v1, v2, s6 dst_sel:DWORD dst_unused:UNUSED_PAD src0_sel:WORD_0 src1_sel:DWORD
	v_sub_u16_sdwa v3, v2, v1 dst_sel:DWORD dst_unused:UNUSED_PAD src0_sel:DWORD src1_sel:WORD_1
	v_lshrrev_b16_e32 v3, 1, v3
	v_add_u16_sdwa v1, v3, v1 dst_sel:DWORD dst_unused:UNUSED_PAD src0_sel:DWORD src1_sel:WORD_1
	v_lshrrev_b16_e32 v40, 5, v1
	s_waitcnt lgkmcnt(0)
	s_barrier
	global_load_dwordx3 v[4:6], v[4:5], off offset:104
	v_mul_lo_u16_e32 v1, 39, v40
	v_sub_u16_e32 v41, v2, v1
	v_mul_lo_u16_e32 v14, 12, v41
	v_mov_b32_e32 v15, 0
	v_lshl_add_u64 v[2:3], s[4:5], 0, v[14:15]
	v_mul_u32_u24_sdwa v1, v0, s6 dst_sel:DWORD dst_unused:UNUSED_PAD src0_sel:WORD_0 src1_sel:DWORD
	global_load_dwordx3 v[8:10], v[2:3], off offset:104
	v_sub_u16_sdwa v2, v0, v1 dst_sel:DWORD dst_unused:UNUSED_PAD src0_sel:DWORD src1_sel:WORD_1
	v_lshrrev_b16_e32 v2, 1, v2
	v_add_u16_sdwa v1, v2, v1 dst_sel:DWORD dst_unused:UNUSED_PAD src0_sel:DWORD src1_sel:WORD_1
	v_lshrrev_b16_e32 v47, 5, v1
	v_mul_lo_u16_e32 v1, 39, v47
	v_sub_u16_e32 v50, v0, v1
	v_mul_lo_u16_e32 v14, 12, v50
	v_lshl_add_u64 v[0:1], s[4:5], 0, v[14:15]
	global_load_dwordx3 v[12:14], v[0:1], off offset:104
	ds_read2_b32 v[0:1], v11 offset1:156
	ds_read2_b32 v[2:3], v70 offset0:56 offset1:212
	ds_read2_b32 v[30:31], v71 offset0:40 offset1:196
	;; [unrolled: 1-line block ×5, first 2 shown]
	s_waitcnt lgkmcnt(4)
	v_lshrrev_b32_e32 v49, 16, v3
	s_waitcnt lgkmcnt(3)
	v_lshrrev_b32_e32 v51, 16, v30
	;; [unrolled: 2-line block ×4, first 2 shown]
	v_lshrrev_b32_e32 v55, 16, v31
	s_waitcnt lgkmcnt(0)
	v_lshrrev_b32_e32 v56, 16, v36
	v_lshrrev_b32_e32 v58, 16, v35
	;; [unrolled: 1-line block ×6, first 2 shown]
	s_movk_i32 s6, 0x9c
	v_mul_u32_u24_sdwa v38, v38, s6 dst_sel:DWORD dst_unused:UNUSED_PAD src0_sel:WORD_0 src1_sel:DWORD
	v_lshrrev_b32_e32 v57, 16, v2
	s_barrier
	s_waitcnt vmcnt(2)
	v_mul_f16_sdwa v61, v49, v4 dst_sel:DWORD dst_unused:UNUSED_PAD src0_sel:DWORD src1_sel:WORD_1
	v_fma_f16 v61, v3, v4, -v61
	v_mul_f16_sdwa v3, v3, v4 dst_sel:DWORD dst_unused:UNUSED_PAD src0_sel:DWORD src1_sel:WORD_1
	v_fma_f16 v3, v49, v4, v3
	v_mul_f16_sdwa v49, v51, v5 dst_sel:DWORD dst_unused:UNUSED_PAD src0_sel:DWORD src1_sel:WORD_1
	v_fma_f16 v49, v30, v5, -v49
	v_mul_f16_sdwa v30, v30, v5 dst_sel:DWORD dst_unused:UNUSED_PAD src0_sel:DWORD src1_sel:WORD_1
	v_fma_f16 v30, v51, v5, v30
	;; [unrolled: 4-line block ×3, first 2 shown]
	s_waitcnt vmcnt(1)
	v_mul_f16_sdwa v52, v54, v8 dst_sel:DWORD dst_unused:UNUSED_PAD src0_sel:DWORD src1_sel:WORD_1
	v_fma_f16 v52, v34, v8, -v52
	v_mul_f16_sdwa v34, v34, v8 dst_sel:DWORD dst_unused:UNUSED_PAD src0_sel:DWORD src1_sel:WORD_1
	v_fma_f16 v34, v54, v8, v34
	v_mul_f16_sdwa v54, v55, v9 dst_sel:DWORD dst_unused:UNUSED_PAD src0_sel:DWORD src1_sel:WORD_1
	v_fma_f16 v54, v31, v9, -v54
	v_mul_f16_sdwa v31, v31, v9 dst_sel:DWORD dst_unused:UNUSED_PAD src0_sel:DWORD src1_sel:WORD_1
	v_fma_f16 v31, v55, v9, v31
	;; [unrolled: 4-line block ×3, first 2 shown]
	s_waitcnt vmcnt(0)
	v_mul_f16_sdwa v56, v58, v12 dst_sel:DWORD dst_unused:UNUSED_PAD src0_sel:DWORD src1_sel:WORD_1
	v_fma_f16 v56, v35, v12, -v56
	v_mul_f16_sdwa v35, v35, v12 dst_sel:DWORD dst_unused:UNUSED_PAD src0_sel:DWORD src1_sel:WORD_1
	v_fma_f16 v35, v58, v12, v35
	v_mul_f16_sdwa v58, v59, v13 dst_sel:DWORD dst_unused:UNUSED_PAD src0_sel:DWORD src1_sel:WORD_1
	v_fma_f16 v58, v32, v13, -v58
	v_mul_f16_sdwa v32, v32, v13 dst_sel:DWORD dst_unused:UNUSED_PAD src0_sel:DWORD src1_sel:WORD_1
	v_sub_f16_e32 v30, v48, v30
	v_sub_f16_e32 v33, v3, v33
	v_fma_f16 v32, v59, v13, v32
	v_mul_f16_sdwa v59, v60, v14 dst_sel:DWORD dst_unused:UNUSED_PAD src0_sel:DWORD src1_sel:WORD_1
	v_fma_f16 v48, v48, 2.0, -v30
	v_fma_f16 v3, v3, 2.0, -v33
	v_fma_f16 v59, v37, v14, -v59
	v_mul_f16_sdwa v37, v37, v14 dst_sel:DWORD dst_unused:UNUSED_PAD src0_sel:DWORD src1_sel:WORD_1
	v_sub_f16_e32 v51, v61, v51
	v_sub_f16_e32 v3, v48, v3
	v_fma_f16 v37, v60, v14, v37
	v_sub_f16_e32 v49, v0, v49
	v_fma_f16 v60, v61, 2.0, -v51
	v_fma_f16 v61, v48, 2.0, -v3
	v_sub_f16_e32 v48, v1, v54
	v_sub_f16_e32 v36, v34, v36
	v_fma_f16 v0, v0, 2.0, -v49
	v_fma_f16 v34, v34, 2.0, -v36
	v_sub_f16_e32 v36, v48, v36
	v_sub_f16_e32 v60, v0, v60
	;; [unrolled: 1-line block ×3, first 2 shown]
	v_add_f16_e32 v51, v30, v51
	v_fma_f16 v1, v1, 2.0, -v48
	v_sub_f16_e32 v54, v52, v55
	v_fma_f16 v55, v48, 2.0, -v36
	v_sub_f16_e32 v48, v2, v58
	v_sub_f16_e32 v37, v35, v37
	v_fma_f16 v0, v0, 2.0, -v60
	v_fma_f16 v49, v49, 2.0, -v33
	;; [unrolled: 1-line block ×3, first 2 shown]
	v_sub_f16_e32 v31, v53, v31
	v_fma_f16 v35, v35, 2.0, -v37
	v_sub_f16_e32 v37, v48, v37
	v_fma_f16 v53, v53, 2.0, -v31
	v_fma_f16 v52, v52, 2.0, -v54
	;; [unrolled: 1-line block ×3, first 2 shown]
	v_sub_f16_e32 v58, v56, v59
	v_fma_f16 v59, v48, 2.0, -v37
	v_add_lshl_u32 v48, v38, v39, 2
	v_pack_b32_f16 v0, v0, v61
	v_pack_b32_f16 v30, v49, v30
	v_sub_f16_e32 v52, v1, v52
	v_sub_f16_e32 v34, v53, v34
	v_add_f16_e32 v54, v31, v54
	ds_write2_b32 v48, v0, v30 offset1:39
	v_pack_b32_f16 v0, v60, v3
	v_pack_b32_f16 v3, v33, v51
	v_fma_f16 v1, v1, 2.0, -v52
	v_fma_f16 v53, v53, 2.0, -v34
	;; [unrolled: 1-line block ×3, first 2 shown]
	v_sub_f16_e32 v32, v57, v32
	ds_write2_b32 v48, v0, v3 offset0:78 offset1:117
	v_mad_legacy_u16 v0, v40, s6, v41
	v_fma_f16 v57, v57, 2.0, -v32
	v_fma_f16 v56, v56, 2.0, -v58
	v_lshlrev_b32_e32 v49, 2, v0
	v_pack_b32_f16 v0, v1, v53
	v_pack_b32_f16 v1, v55, v31
	v_sub_f16_e32 v56, v2, v56
	v_sub_f16_e32 v35, v57, v35
	v_add_f16_e32 v58, v32, v58
	ds_write2_b32 v49, v0, v1 offset1:39
	v_pack_b32_f16 v0, v52, v34
	v_pack_b32_f16 v1, v36, v54
	v_fma_f16 v2, v2, 2.0, -v56
	v_fma_f16 v57, v57, 2.0, -v35
	v_fma_f16 v32, v32, 2.0, -v58
	ds_write2_b32 v49, v0, v1 offset0:78 offset1:117
	v_mad_legacy_u16 v0, v47, s6, v50
	v_lshlrev_b32_e32 v50, 2, v0
	v_pack_b32_f16 v0, v2, v57
	v_pack_b32_f16 v1, v59, v32
	ds_write2_b32 v50, v0, v1 offset1:39
	v_pack_b32_f16 v0, v56, v35
	v_pack_b32_f16 v1, v37, v58
	v_mad_u64_u32 v[30:31], s[4:5], v18, 20, s[4:5]
	ds_write2_b32 v50, v0, v1 offset0:78 offset1:117
	s_waitcnt lgkmcnt(0)
	s_barrier
	global_load_dwordx4 v[0:3], v[30:31], off offset:572
	global_load_dword v47, v[30:31], off offset:588
	ds_read2_b32 v[32:33], v11 offset1:156
	ds_read2_b32 v[34:35], v70 offset0:56 offset1:212
	ds_read2_b32 v[36:37], v7 offset0:48 offset1:204
	;; [unrolled: 1-line block ×5, first 2 shown]
	s_waitcnt lgkmcnt(4)
	v_lshrrev_b32_e32 v54, 16, v34
	s_waitcnt lgkmcnt(3)
	v_lshrrev_b32_e32 v55, 16, v36
	;; [unrolled: 2-line block ×5, first 2 shown]
	v_lshrrev_b32_e32 v60, 16, v35
	v_lshrrev_b32_e32 v61, 16, v37
	;; [unrolled: 1-line block ×7, first 2 shown]
	s_barrier
	s_waitcnt vmcnt(1)
	v_mul_f16_sdwa v65, v54, v0 dst_sel:DWORD dst_unused:UNUSED_PAD src0_sel:DWORD src1_sel:WORD_1
	v_fma_f16 v65, v34, v0, -v65
	v_mul_f16_sdwa v34, v34, v0 dst_sel:DWORD dst_unused:UNUSED_PAD src0_sel:DWORD src1_sel:WORD_1
	v_fma_f16 v34, v54, v0, v34
	v_mul_f16_sdwa v54, v55, v1 dst_sel:DWORD dst_unused:UNUSED_PAD src0_sel:DWORD src1_sel:WORD_1
	v_fma_f16 v54, v36, v1, -v54
	v_mul_f16_sdwa v36, v36, v1 dst_sel:DWORD dst_unused:UNUSED_PAD src0_sel:DWORD src1_sel:WORD_1
	v_fma_f16 v36, v55, v1, v36
	;; [unrolled: 4-line block ×4, first 2 shown]
	s_waitcnt vmcnt(0)
	v_mul_f16_sdwa v57, v58, v47 dst_sel:DWORD dst_unused:UNUSED_PAD src0_sel:DWORD src1_sel:WORD_1
	v_fma_f16 v57, v52, v47, -v57
	v_mul_f16_sdwa v52, v52, v47 dst_sel:DWORD dst_unused:UNUSED_PAD src0_sel:DWORD src1_sel:WORD_1
	v_fma_f16 v52, v58, v47, v52
	v_mul_f16_sdwa v58, v60, v0 dst_sel:DWORD dst_unused:UNUSED_PAD src0_sel:DWORD src1_sel:WORD_1
	v_fma_f16 v58, v35, v0, -v58
	v_mul_f16_sdwa v35, v35, v0 dst_sel:DWORD dst_unused:UNUSED_PAD src0_sel:DWORD src1_sel:WORD_1
	v_fma_f16 v35, v60, v0, v35
	;; [unrolled: 4-line block ×5, first 2 shown]
	v_mul_f16_sdwa v63, v64, v47 dst_sel:DWORD dst_unused:UNUSED_PAD src0_sel:DWORD src1_sel:WORD_1
	v_fma_f16 v63, v53, v47, -v63
	v_mul_f16_sdwa v53, v53, v47 dst_sel:DWORD dst_unused:UNUSED_PAD src0_sel:DWORD src1_sel:WORD_1
	v_add_f16_e32 v66, v54, v56
	v_fma_f16 v53, v64, v47, v53
	v_add_f16_e32 v64, v32, v54
	v_fma_f16 v32, v66, -0.5, v32
	v_sub_f16_e32 v66, v36, v40
	v_fma_f16 v67, v66, s1, v32
	v_fma_f16 v32, v66, s0, v32
	v_add_f16_e32 v66, v51, v36
	v_add_f16_e32 v66, v66, v40
	;; [unrolled: 1-line block ×3, first 2 shown]
	v_sub_f16_e32 v40, v54, v56
	v_add_f16_e32 v54, v55, v57
	v_add_f16_e32 v64, v64, v56
	v_fma_f16 v36, v36, -0.5, v51
	v_fma_f16 v54, v54, -0.5, v65
	v_sub_f16_e32 v56, v38, v52
	v_fma_f16 v51, v40, s0, v36
	v_fma_f16 v36, v40, s1, v36
	v_add_f16_e32 v40, v65, v55
	v_fma_f16 v65, v56, s1, v54
	v_fma_f16 v54, v56, s0, v54
	v_add_f16_e32 v56, v34, v38
	v_add_f16_e32 v38, v38, v52
	v_fma_f16 v34, v38, -0.5, v34
	v_sub_f16_e32 v38, v55, v57
	v_add_f16_e32 v56, v56, v52
	v_fma_f16 v52, v38, s0, v34
	v_mul_f16_e32 v55, 0x3aee, v52
	v_fma_f16 v34, v38, s1, v34
	v_fma_f16 v55, v65, 0.5, v55
	v_mul_f16_e32 v68, -0.5, v54
	v_mul_f16_e32 v65, 0xbaee, v65
	v_fma_f16 v68, v34, s1, v68
	v_fma_f16 v52, v52, 0.5, v65
	v_mul_f16_e32 v34, -0.5, v34
	v_add_f16_e32 v65, v51, v52
	v_fma_f16 v34, v54, s0, v34
	v_sub_f16_e32 v51, v51, v52
	v_add_f16_e32 v52, v60, v62
	v_add_f16_e32 v40, v40, v57
	;; [unrolled: 1-line block ×3, first 2 shown]
	v_sub_f16_e32 v34, v36, v34
	v_add_f16_e32 v36, v33, v60
	v_fma_f16 v33, v52, -0.5, v33
	v_sub_f16_e32 v52, v37, v41
	v_add_f16_e32 v38, v64, v40
	v_sub_f16_e32 v40, v64, v40
	v_fma_f16 v64, v52, s1, v33
	v_fma_f16 v33, v52, s0, v33
	v_add_f16_e32 v52, v59, v37
	v_add_f16_e32 v37, v37, v41
	;; [unrolled: 1-line block ×3, first 2 shown]
	v_fma_f16 v37, v37, -0.5, v59
	v_sub_f16_e32 v41, v60, v62
	v_add_f16_e32 v60, v61, v63
	v_fma_f16 v59, v41, s0, v37
	v_fma_f16 v37, v41, s1, v37
	v_add_f16_e32 v41, v58, v61
	v_fma_f16 v58, v60, -0.5, v58
	v_sub_f16_e32 v60, v39, v53
	v_add_f16_e32 v36, v36, v62
	v_fma_f16 v62, v60, s1, v58
	v_fma_f16 v58, v60, s0, v58
	v_add_f16_e32 v60, v35, v39
	v_add_f16_e32 v39, v39, v53
	v_fma_f16 v35, v39, -0.5, v35
	v_sub_f16_e32 v39, v61, v63
	v_add_f16_e32 v73, v66, v56
	v_sub_f16_e32 v56, v66, v56
	v_add_f16_e32 v60, v60, v53
	v_fma_f16 v53, v39, s0, v35
	v_fma_f16 v35, v39, s1, v35
	v_mul_f16_e32 v66, -0.5, v58
	v_fma_f16 v66, v35, s1, v66
	v_mul_f16_e32 v35, -0.5, v35
	v_add_f16_e32 v57, v67, v55
	v_mul_f16_e32 v61, 0x3aee, v53
	v_fma_f16 v35, v58, s0, v35
	v_add_f16_e32 v72, v32, v68
	v_fma_f16 v61, v62, 0.5, v61
	v_mul_f16_e32 v62, 0xbaee, v62
	v_add_f16_e32 v58, v37, v35
	v_sub_f16_e32 v35, v37, v35
	v_pack_b32_f16 v37, v38, v73
	v_pack_b32_f16 v38, v57, v65
	v_sub_f16_e32 v55, v67, v55
	v_sub_f16_e32 v32, v32, v68
	v_add_f16_e32 v41, v41, v63
	v_fma_f16 v53, v53, 0.5, v62
	ds_write2_b32 v11, v37, v38 offset1:156
	v_pack_b32_f16 v37, v72, v54
	v_pack_b32_f16 v38, v40, v56
	v_add_f16_e32 v39, v36, v41
	v_add_f16_e32 v63, v64, v61
	;; [unrolled: 1-line block ×4, first 2 shown]
	ds_write2_b32 v70, v37, v38 offset0:56 offset1:212
	v_pack_b32_f16 v37, v55, v51
	v_pack_b32_f16 v32, v32, v34
	v_add_f16_e32 v67, v33, v66
	v_sub_f16_e32 v36, v36, v41
	v_sub_f16_e32 v52, v52, v60
	ds_write2_b32 v7, v37, v32 offset0:48 offset1:204
	v_pack_b32_f16 v32, v39, v68
	v_pack_b32_f16 v34, v63, v62
	v_sub_f16_e32 v41, v64, v61
	v_sub_f16_e32 v33, v33, v66
	v_sub_f16_e32 v53, v59, v53
	ds_write2_b32 v71, v32, v34 offset0:40 offset1:196
	v_pack_b32_f16 v32, v67, v58
	v_pack_b32_f16 v34, v36, v52
	ds_write2_b32 v69, v32, v34 offset0:96 offset1:252
	v_pack_b32_f16 v32, v41, v53
	v_pack_b32_f16 v33, v33, v35
	ds_write2_b32 v17, v32, v33 offset0:24 offset1:180
	v_lshlrev_b32_e32 v32, 4, v18
	v_sub_co_u32_e32 v30, vcc, v30, v32
	s_waitcnt lgkmcnt(0)
	s_nop 0
	v_subbrev_co_u32_e32 v31, vcc, 0, v31, vcc
	s_barrier
	global_load_dword v51, v[30:31], off offset:3692
	s_movk_i32 s0, 0x1000
	v_add_co_u32_e32 v30, vcc, s0, v30
	s_nop 1
	v_addc_co_u32_e32 v31, vcc, 0, v31, vcc
	global_load_dword v52, v[30:31], off offset:220
	global_load_dword v53, v[30:31], off offset:844
	;; [unrolled: 1-line block ×5, first 2 shown]
	ds_read2_b32 v[34:35], v11 offset1:156
	ds_read2_b32 v[30:31], v71 offset0:40 offset1:196
	ds_read2_b32 v[32:33], v69 offset0:96 offset1:252
	;; [unrolled: 1-line block ×5, first 2 shown]
	s_waitcnt lgkmcnt(5)
	v_lshrrev_b32_e32 v40, 16, v34
	s_waitcnt lgkmcnt(4)
	v_lshrrev_b32_e32 v41, 16, v30
	v_lshrrev_b32_e32 v57, 16, v31
	s_waitcnt lgkmcnt(3)
	v_lshrrev_b32_e32 v58, 16, v32
	;; [unrolled: 3-line block ×3, first 2 shown]
	v_lshrrev_b32_e32 v64, 16, v37
	v_lshrrev_b32_e32 v60, 16, v35
	;; [unrolled: 1-line block ×6, first 2 shown]
	s_waitcnt vmcnt(5)
	v_mul_f16_sdwa v65, v41, v51 dst_sel:DWORD dst_unused:UNUSED_PAD src0_sel:DWORD src1_sel:WORD_1
	v_fma_f16 v65, v30, v51, -v65
	v_mul_f16_sdwa v30, v30, v51 dst_sel:DWORD dst_unused:UNUSED_PAD src0_sel:DWORD src1_sel:WORD_1
	v_fma_f16 v30, v41, v51, v30
	s_waitcnt vmcnt(4)
	v_mul_f16_sdwa v41, v57, v52 dst_sel:DWORD dst_unused:UNUSED_PAD src0_sel:DWORD src1_sel:WORD_1
	v_fma_f16 v41, v31, v52, -v41
	v_mul_f16_sdwa v31, v31, v52 dst_sel:DWORD dst_unused:UNUSED_PAD src0_sel:DWORD src1_sel:WORD_1
	v_fma_f16 v67, v57, v52, v31
	;; [unrolled: 5-line block ×6, first 2 shown]
	v_sub_f16_e32 v31, v34, v65
	v_sub_f16_e32 v58, v40, v30
	;; [unrolled: 1-line block ×5, first 2 shown]
	v_fma_f16 v30, v34, 2.0, -v31
	v_fma_f16 v57, v40, 2.0, -v58
	;; [unrolled: 1-line block ×4, first 2 shown]
	v_sub_f16_e32 v35, v38, v74
	v_fma_f16 v36, v39, 2.0, -v37
	v_sub_f16_e32 v39, v72, v78
	v_sub_f16_e32 v61, v62, v75
	v_fma_f16 v34, v38, 2.0, -v35
	v_sub_f16_e32 v64, v63, v77
	v_fma_f16 v38, v72, 2.0, -v39
	v_sub_f16_e32 v41, v73, v80
	v_pack_b32_f16 v72, v30, v57
	v_pack_b32_f16 v74, v32, v60
	v_fma_f16 v62, v62, 2.0, -v61
	v_fma_f16 v63, v63, 2.0, -v64
	;; [unrolled: 1-line block ×3, first 2 shown]
	v_pack_b32_f16 v73, v31, v58
	ds_write2_b32 v11, v72, v74 offset1:156
	v_pack_b32_f16 v72, v33, v59
	v_sub_f16_e32 v65, v66, v79
	v_sub_f16_e32 v67, v68, v81
	ds_write2_b32 v71, v73, v72 offset0:40 offset1:196
	v_pack_b32_f16 v71, v34, v62
	v_pack_b32_f16 v73, v36, v63
	v_fma_f16 v66, v66, 2.0, -v65
	v_fma_f16 v68, v68, 2.0, -v67
	v_pack_b32_f16 v72, v35, v61
	ds_write2_b32 v70, v71, v73 offset0:56 offset1:212
	v_pack_b32_f16 v70, v37, v64
	ds_write2_b32 v69, v72, v70 offset0:96 offset1:252
	v_pack_b32_f16 v69, v38, v66
	v_pack_b32_f16 v71, v40, v68
	;; [unrolled: 1-line block ×3, first 2 shown]
	ds_write2_b32 v7, v69, v71 offset0:48 offset1:204
	v_pack_b32_f16 v7, v41, v67
	ds_write2_b32 v17, v70, v7 offset0:24 offset1:180
	v_lshlrev_b32_e32 v7, 2, v18
	s_waitcnt lgkmcnt(0)
	s_barrier
	s_and_saveexec_b64 s[0:1], s[2:3]
	s_cbranch_execz .LBB0_9
; %bb.8:
	v_mov_b32_e32 v17, v15
	v_lshl_add_u64 v[70:71], s[12:13], 0, v[16:17]
	v_add_co_u32_e32 v72, vcc, 0x1000, v70
	s_mov_b64 s[4:5], 0x1d40
	s_nop 0
	v_addc_co_u32_e32 v73, vcc, 0, v71, vcc
	global_load_dword v15, v[72:73], off offset:3392
	v_lshl_add_u64 v[72:73], v[70:71], 0, s[4:5]
	global_load_dword v17, v[72:73], off offset:576
	global_load_dword v69, v[72:73], off offset:1152
	global_load_dword v78, v[72:73], off offset:1728
	global_load_dword v79, v[72:73], off offset:2304
	global_load_dword v80, v[72:73], off offset:2880
	global_load_dword v81, v[72:73], off offset:3456
	global_load_dword v82, v[72:73], off offset:4032
	s_movk_i32 s4, 0x2000
	v_add_co_u32_e32 v72, vcc, s4, v70
	s_movk_i32 s4, 0x3000
	s_nop 0
	v_addc_co_u32_e32 v73, vcc, 0, v71, vcc
	global_load_dword v83, v[72:73], off offset:3904
	v_add_co_u32_e32 v70, vcc, s4, v70
	v_add_u32_e32 v86, 0x200, v7
	s_nop 0
	v_addc_co_u32_e32 v71, vcc, 0, v71, vcc
	global_load_dword v84, v[70:71], off offset:384
	global_load_dword v85, v[70:71], off offset:960
	ds_read_b32 v72, v11
	global_load_dword v90, v[70:71], off offset:1536
	global_load_dword v91, v[70:71], off offset:2112
	v_add_u32_e32 v87, 0x600, v7
	v_add_u32_e32 v88, 0xa00, v7
	;; [unrolled: 1-line block ×3, first 2 shown]
	s_waitcnt lgkmcnt(0)
	v_lshrrev_b32_e32 v70, 16, v72
	s_waitcnt vmcnt(12)
	v_mul_f16_sdwa v71, v70, v15 dst_sel:DWORD dst_unused:UNUSED_PAD src0_sel:DWORD src1_sel:WORD_1
	v_mul_f16_sdwa v73, v72, v15 dst_sel:DWORD dst_unused:UNUSED_PAD src0_sel:DWORD src1_sel:WORD_1
	v_fma_f16 v71, v72, v15, -v71
	v_fma_f16 v15, v70, v15, v73
	v_pack_b32_f16 v15, v71, v15
	ds_write_b32 v11, v15
	ds_read2_b32 v[70:71], v86 offset0:16 offset1:160
	ds_read2_b32 v[72:73], v87 offset0:48 offset1:192
	;; [unrolled: 1-line block ×4, first 2 shown]
	v_add_u32_e32 v15, 0x1400, v7
	s_waitcnt lgkmcnt(2)
	v_lshrrev_b32_e32 v96, 16, v72
	v_lshrrev_b32_e32 v92, 16, v70
	s_waitcnt vmcnt(11)
	v_mul_f16_sdwa v93, v70, v17 dst_sel:DWORD dst_unused:UNUSED_PAD src0_sel:DWORD src1_sel:WORD_1
	v_lshrrev_b32_e32 v94, 16, v71
	s_waitcnt vmcnt(10)
	v_mul_f16_sdwa v95, v71, v69 dst_sel:DWORD dst_unused:UNUSED_PAD src0_sel:DWORD src1_sel:WORD_1
	s_waitcnt vmcnt(9)
	v_mul_f16_sdwa v97, v72, v78 dst_sel:DWORD dst_unused:UNUSED_PAD src0_sel:DWORD src1_sel:WORD_1
	v_lshrrev_b32_e32 v98, 16, v73
	s_waitcnt vmcnt(8)
	v_mul_f16_sdwa v99, v73, v79 dst_sel:DWORD dst_unused:UNUSED_PAD src0_sel:DWORD src1_sel:WORD_1
	s_waitcnt lgkmcnt(1)
	v_lshrrev_b32_e32 v100, 16, v74
	s_waitcnt vmcnt(7)
	v_mul_f16_sdwa v101, v74, v80 dst_sel:DWORD dst_unused:UNUSED_PAD src0_sel:DWORD src1_sel:WORD_1
	v_lshrrev_b32_e32 v102, 16, v75
	v_mul_f16_sdwa v107, v92, v17 dst_sel:DWORD dst_unused:UNUSED_PAD src0_sel:DWORD src1_sel:WORD_1
	v_fma_f16 v92, v92, v17, v93
	v_mul_f16_sdwa v93, v94, v69 dst_sel:DWORD dst_unused:UNUSED_PAD src0_sel:DWORD src1_sel:WORD_1
	s_waitcnt vmcnt(6)
	v_mul_f16_sdwa v103, v75, v81 dst_sel:DWORD dst_unused:UNUSED_PAD src0_sel:DWORD src1_sel:WORD_1
	v_fma_f16 v94, v94, v69, v95
	v_mul_f16_sdwa v95, v96, v78 dst_sel:DWORD dst_unused:UNUSED_PAD src0_sel:DWORD src1_sel:WORD_1
	v_fma_f16 v96, v96, v78, v97
	;; [unrolled: 2-line block ×4, first 2 shown]
	v_mul_f16_sdwa v101, v102, v81 dst_sel:DWORD dst_unused:UNUSED_PAD src0_sel:DWORD src1_sel:WORD_1
	v_fma_f16 v17, v70, v17, -v107
	v_fma_f16 v69, v71, v69, -v93
	v_fma_f16 v102, v102, v81, v103
	v_fma_f16 v70, v72, v78, -v95
	v_fma_f16 v71, v73, v79, -v97
	;; [unrolled: 1-line block ×4, first 2 shown]
	v_pack_b32_f16 v17, v17, v92
	v_pack_b32_f16 v69, v69, v94
	v_pack_b32_f16 v70, v70, v96
	v_pack_b32_f16 v71, v71, v98
	v_pack_b32_f16 v72, v72, v100
	v_pack_b32_f16 v73, v73, v102
	ds_write2_b32 v86, v17, v69 offset0:16 offset1:160
	ds_write2_b32 v87, v70, v71 offset0:48 offset1:192
	;; [unrolled: 1-line block ×3, first 2 shown]
	ds_read2_b32 v[70:71], v15 offset0:16 offset1:160
	s_waitcnt lgkmcnt(4)
	v_lshrrev_b32_e32 v104, 16, v76
	s_waitcnt vmcnt(5)
	v_mul_f16_sdwa v105, v76, v82 dst_sel:DWORD dst_unused:UNUSED_PAD src0_sel:DWORD src1_sel:WORD_1
	v_lshrrev_b32_e32 v106, 16, v77
	v_mul_f16_sdwa v103, v104, v82 dst_sel:DWORD dst_unused:UNUSED_PAD src0_sel:DWORD src1_sel:WORD_1
	v_fma_f16 v104, v104, v82, v105
	s_waitcnt vmcnt(4)
	v_mul_f16_sdwa v105, v106, v83 dst_sel:DWORD dst_unused:UNUSED_PAD src0_sel:DWORD src1_sel:WORD_1
	v_mul_f16_sdwa v17, v77, v83 dst_sel:DWORD dst_unused:UNUSED_PAD src0_sel:DWORD src1_sel:WORD_1
	v_fma_f16 v74, v76, v82, -v103
	v_fma_f16 v75, v77, v83, -v105
	v_fma_f16 v17, v106, v83, v17
	v_pack_b32_f16 v74, v74, v104
	v_pack_b32_f16 v17, v75, v17
	ds_write2_b32 v89, v74, v17 offset0:48 offset1:192
	s_waitcnt lgkmcnt(1)
	v_lshrrev_b32_e32 v17, 16, v70
	s_waitcnt vmcnt(3)
	v_mul_f16_sdwa v69, v17, v84 dst_sel:DWORD dst_unused:UNUSED_PAD src0_sel:DWORD src1_sel:WORD_1
	v_fma_f16 v69, v70, v84, -v69
	v_mul_f16_sdwa v70, v70, v84 dst_sel:DWORD dst_unused:UNUSED_PAD src0_sel:DWORD src1_sel:WORD_1
	v_fma_f16 v17, v17, v84, v70
	v_add_u32_e32 v74, 0x1800, v7
	v_pack_b32_f16 v17, v69, v17
	v_lshrrev_b32_e32 v69, 16, v71
	ds_read2_b32 v[72:73], v74 offset0:48 offset1:192
	s_waitcnt vmcnt(2)
	v_mul_f16_sdwa v70, v69, v85 dst_sel:DWORD dst_unused:UNUSED_PAD src0_sel:DWORD src1_sel:WORD_1
	v_fma_f16 v70, v71, v85, -v70
	v_mul_f16_sdwa v71, v71, v85 dst_sel:DWORD dst_unused:UNUSED_PAD src0_sel:DWORD src1_sel:WORD_1
	v_fma_f16 v69, v69, v85, v71
	v_pack_b32_f16 v69, v70, v69
	ds_write2_b32 v15, v17, v69 offset0:16 offset1:160
	s_waitcnt lgkmcnt(1)
	v_lshrrev_b32_e32 v15, 16, v72
	s_waitcnt vmcnt(1)
	v_mul_f16_sdwa v17, v15, v90 dst_sel:DWORD dst_unused:UNUSED_PAD src0_sel:DWORD src1_sel:WORD_1
	v_mul_f16_sdwa v69, v72, v90 dst_sel:DWORD dst_unused:UNUSED_PAD src0_sel:DWORD src1_sel:WORD_1
	v_fma_f16 v17, v72, v90, -v17
	v_fma_f16 v15, v15, v90, v69
	v_pack_b32_f16 v15, v17, v15
	v_lshrrev_b32_e32 v17, 16, v73
	s_waitcnt vmcnt(0)
	v_mul_f16_sdwa v69, v17, v91 dst_sel:DWORD dst_unused:UNUSED_PAD src0_sel:DWORD src1_sel:WORD_1
	v_mul_f16_sdwa v70, v73, v91 dst_sel:DWORD dst_unused:UNUSED_PAD src0_sel:DWORD src1_sel:WORD_1
	v_fma_f16 v69, v73, v91, -v69
	v_fma_f16 v17, v17, v91, v70
	v_pack_b32_f16 v17, v69, v17
	ds_write2_b32 v74, v15, v17 offset0:48 offset1:192
.LBB0_9:
	s_or_b64 exec, exec, s[0:1]
	s_waitcnt lgkmcnt(0)
	s_barrier
	s_and_saveexec_b64 s[0:1], s[2:3]
	s_cbranch_execz .LBB0_11
; %bb.10:
	v_add_u32_e32 v15, 0x400, v11
	ds_read2_b32 v[32:33], v15 offset0:32 offset1:176
	v_add_u32_e32 v15, 0xc00, v11
	ds_read2_b32 v[36:37], v15 offset0:96 offset1:240
	v_add_u32_e32 v15, 0x1200, v11
	v_add_u32_e32 v17, 0x800, v11
	ds_read2_b32 v[38:39], v15 offset1:144
	v_add_u32_e32 v15, 0x1600, v11
	ds_read2_b32 v[30:31], v11 offset1:144
	ds_read2_b32 v[34:35], v17 offset0:64 offset1:208
	ds_read2_b32 v[40:41], v15 offset0:32 offset1:176
	ds_read_b32 v43, v11 offset:6912
	s_waitcnt lgkmcnt(6)
	v_lshrrev_b32_e32 v60, 16, v32
	s_waitcnt lgkmcnt(3)
	v_lshrrev_b32_e32 v57, 16, v30
	v_lshrrev_b32_e32 v58, 16, v31
	;; [unrolled: 1-line block ×3, first 2 shown]
	s_waitcnt lgkmcnt(2)
	v_lshrrev_b32_e32 v62, 16, v34
	v_lshrrev_b32_e32 v61, 16, v35
	;; [unrolled: 1-line block ×6, first 2 shown]
	s_waitcnt lgkmcnt(1)
	v_lshrrev_b32_e32 v68, 16, v40
	v_lshrrev_b32_e32 v67, 16, v41
	s_waitcnt lgkmcnt(0)
	v_lshrrev_b32_e32 v42, 16, v43
.LBB0_11:
	s_or_b64 exec, exec, s[0:1]
	s_barrier
	s_and_saveexec_b64 s[0:1], s[2:3]
	s_cbranch_execz .LBB0_13
; %bb.12:
	v_sub_f16_e32 v15, v31, v43
	v_mul_f16_e32 v17, 0xba95, v15
	v_add_f16_e32 v69, v42, v58
	s_movk_i32 s4, 0x388b
	v_sub_f16_e32 v71, v32, v41
	v_fma_f16 v70, v69, s4, v17
	v_mul_f16_e32 v72, 0xbb7b, v71
	v_add_f16_e32 v73, v67, v60
	s_mov_b32 s5, 0xb5ac
	v_add_f16_e32 v70, v57, v70
	v_fma_f16 v74, v73, s5, v72
	v_add_f16_e32 v70, v74, v70
	v_sub_f16_e32 v74, v33, v40
	v_mul_f16_e32 v75, 0xb3a8, v74
	v_add_f16_e32 v76, v68, v59
	s_mov_b32 s6, 0xbbc4
	v_fma_f16 v77, v76, s6, v75
	v_add_f16_e32 v70, v77, v70
	v_sub_f16_e32 v77, v34, v39
	v_mul_f16_e32 v78, 0x394e, v77
	v_add_f16_e32 v79, v65, v62
	s_mov_b32 s18, 0xb9fd
	v_fma_f16 v80, v79, s18, v78
	v_add_f16_e32 v70, v80, v70
	v_sub_f16_e32 v80, v35, v38
	v_mul_f16_e32 v81, 0x3bf1, v80
	v_add_f16_e32 v82, v66, v61
	s_movk_i32 s19, 0x2fb7
	v_fma_f16 v83, v82, s19, v81
	v_add_f16_e32 v70, v83, v70
	v_sub_f16_e32 v83, v36, v37
	v_mul_f16_e32 v84, 0x3770, v83
	v_add_f16_e32 v85, v64, v63
	s_movk_i32 s20, 0x3b15
	v_fma_f16 v86, v85, s20, v84
	v_sub_f16_e32 v87, v58, v42
	v_add_f16_e32 v70, v86, v70
	v_add_f16_e32 v86, v43, v31
	v_mul_f16_e32 v88, 0xba95, v87
	v_sub_f16_e32 v91, v60, v67
	v_fma_f16 v89, v86, s4, -v88
	v_add_f16_e32 v90, v41, v32
	v_mul_f16_e32 v92, 0xbb7b, v91
	v_add_f16_e32 v89, v30, v89
	v_fma_f16 v93, v90, s5, -v92
	v_sub_f16_e32 v94, v59, v68
	v_add_f16_e32 v89, v93, v89
	v_add_f16_e32 v93, v40, v33
	v_mul_f16_e32 v95, 0xb3a8, v94
	v_fma_f16 v96, v93, s6, -v95
	v_sub_f16_e32 v97, v62, v65
	v_add_f16_e32 v89, v96, v89
	v_add_f16_e32 v96, v39, v34
	v_mul_f16_e32 v98, 0x394e, v97
	v_fma_f16 v99, v96, s18, -v98
	v_sub_f16_e32 v100, v61, v66
	v_add_f16_e32 v89, v99, v89
	v_add_f16_e32 v99, v38, v35
	v_mul_f16_e32 v101, 0x3bf1, v100
	v_fma_f16 v102, v99, s19, -v101
	v_sub_f16_e32 v103, v63, v64
	v_add_f16_e32 v89, v102, v89
	v_add_f16_e32 v102, v37, v36
	v_mul_f16_e32 v104, 0x3770, v103
	v_fma_f16 v105, v102, s20, -v104
	v_add_f16_e32 v89, v105, v89
	v_mul_f16_e32 v105, 0xbbf1, v15
	v_fma_f16 v106, v69, s19, v105
	v_mul_f16_e32 v107, 0xb3a8, v71
	v_add_f16_e32 v106, v57, v106
	v_fma_f16 v108, v73, s6, v107
	v_add_f16_e32 v106, v108, v106
	v_mul_f16_e32 v108, 0x3b7b, v74
	v_fma_f16 v109, v76, s5, v108
	v_add_f16_e32 v106, v109, v106
	v_mul_f16_e32 v109, 0x3770, v77
	;; [unrolled: 3-line block ×5, first 2 shown]
	v_fma_f16 v113, v86, s19, -v112
	v_mul_f16_e32 v114, 0xb3a8, v91
	v_add_f16_e32 v113, v30, v113
	v_fma_f16 v115, v90, s6, -v114
	v_add_f16_e32 v113, v115, v113
	v_mul_f16_e32 v115, 0x3b7b, v94
	v_fma_f16 v116, v93, s5, -v115
	v_add_f16_e32 v113, v116, v113
	v_mul_f16_e32 v116, 0x3770, v97
	;; [unrolled: 3-line block ×5, first 2 shown]
	v_fma_f16 v120, v69, s5, v119
	v_mul_f16_e32 v121, 0x394e, v71
	v_add_f16_e32 v120, v57, v120
	v_fma_f16 v122, v73, s18, v121
	v_add_f16_e32 v120, v122, v120
	v_mul_f16_e32 v122, 0x3770, v74
	v_fma_f16 v123, v76, s20, v122
	v_add_f16_e32 v120, v123, v120
	v_mul_f16_e32 v123, 0xbbf1, v77
	;; [unrolled: 3-line block ×5, first 2 shown]
	v_fma_f16 v127, v86, s5, -v126
	v_mul_f16_e32 v128, 0x394e, v91
	v_add_f16_e32 v127, v30, v127
	v_fma_f16 v129, v90, s18, -v128
	v_add_f16_e32 v127, v129, v127
	v_mul_f16_e32 v129, 0x3770, v94
	v_fma_f16 v130, v93, s20, -v129
	v_add_f16_e32 v127, v130, v127
	v_mul_f16_e32 v130, 0xbbf1, v97
	v_fma_f16 v131, v96, s19, -v130
	v_add_f16_e32 v127, v131, v127
	v_mul_f16_e32 v131, 0x33a8, v100
	v_fma_f16 v132, v99, s6, -v131
	v_add_f16_e32 v127, v132, v127
	v_mul_f16_e32 v132, 0x3a95, v103
	v_fma_f16 v133, v102, s4, -v132
	v_add_f16_e32 v127, v133, v127
	v_mul_f16_e32 v133, 0xb94e, v15
	v_fma_f16 v134, v69, s18, v133
	v_mul_f16_e32 v135, 0x3bf1, v71
	v_add_f16_e32 v134, v57, v134
	v_fma_f16 v136, v73, s19, v135
	v_add_f16_e32 v134, v136, v134
	v_mul_f16_e32 v136, 0xba95, v74
	v_fma_f16 v137, v76, s4, v136
	v_add_f16_e32 v134, v137, v134
	v_mul_f16_e32 v137, 0x33a8, v77
	;; [unrolled: 3-line block ×5, first 2 shown]
	v_fma_f16 v141, v86, s18, -v140
	v_mul_f16_e32 v142, 0x3bf1, v91
	v_add_f16_e32 v141, v30, v141
	v_fma_f16 v143, v90, s19, -v142
	v_fma_f16 v17, v69, s4, -v17
	v_add_f16_e32 v141, v143, v141
	v_mul_f16_e32 v143, 0xba95, v94
	v_add_f16_e32 v17, v57, v17
	v_fma_f16 v72, v73, s5, -v72
	v_fma_f16 v144, v93, s4, -v143
	v_add_f16_e32 v17, v72, v17
	v_fma_f16 v72, v76, s6, -v75
	v_add_f16_e32 v141, v144, v141
	v_mul_f16_e32 v144, 0x33a8, v97
	v_add_f16_e32 v17, v72, v17
	v_fma_f16 v72, v79, s18, -v78
	v_fma_f16 v145, v96, s6, -v144
	v_add_f16_e32 v17, v72, v17
	;; [unrolled: 7-line block ×3, first 2 shown]
	v_fma_f16 v72, v86, s4, v88
	v_add_f16_e32 v141, v146, v141
	v_mul_f16_e32 v146, 0xbb7b, v103
	v_add_f16_e32 v72, v30, v72
	v_fma_f16 v75, v90, s5, v92
	v_fma_f16 v147, v102, s5, -v146
	v_add_f16_e32 v72, v75, v72
	v_fma_f16 v75, v93, s6, v95
	v_add_f16_e32 v141, v147, v141
	v_mul_f16_e32 v147, 0xb3a8, v15
	v_add_f16_e32 v72, v75, v72
	v_fma_f16 v75, v96, s18, v98
	v_fma_f16 v148, v69, s6, v147
	v_mul_f16_e32 v149, 0x3770, v71
	v_add_f16_e32 v72, v75, v72
	v_fma_f16 v75, v99, s19, v101
	s_movk_i32 s25, 0x3770
	v_add_f16_e32 v148, v57, v148
	v_fma_f16 v150, v73, s20, v149
	v_fma_f16 v147, v69, s6, -v147
	v_fma_f16 v133, v69, s18, -v133
	;; [unrolled: 1-line block ×4, first 2 shown]
	v_add_f16_e32 v72, v75, v72
	v_fma_f16 v75, v102, s20, v104
	v_mul_f16_e32 v69, 0x3b15, v69
	s_movk_i32 s28, 0x3a95
	v_add_f16_e32 v148, v150, v148
	v_mul_f16_e32 v150, 0xb94e, v74
	v_add_f16_e32 v147, v57, v147
	v_fma_f16 v149, v73, s20, -v149
	v_add_f16_e32 v133, v57, v133
	v_fma_f16 v135, v73, s19, -v135
	;; [unrolled: 2-line block ×4, first 2 shown]
	v_add_f16_e32 v72, v75, v72
	v_fma_f16 v75, v15, s25, v69
	v_mul_f16_e32 v73, 0x388b, v73
	s_movk_i32 s24, 0x3bf1
	v_fma_f16 v151, v76, s18, v150
	v_add_f16_e32 v147, v149, v147
	v_fma_f16 v149, v76, s18, -v150
	v_add_f16_e32 v133, v135, v133
	v_fma_f16 v135, v76, s4, -v136
	;; [unrolled: 2-line block ×4, first 2 shown]
	v_add_f16_e32 v75, v57, v75
	v_fma_f16 v78, v71, s28, v73
	v_mul_f16_e32 v76, 0x2fb7, v76
	v_add_f16_e32 v75, v78, v75
	v_fma_f16 v78, v74, s24, v76
	s_movk_i32 s26, 0x3b7b
	v_add_f16_e32 v148, v151, v148
	v_mul_f16_e32 v151, 0x3a95, v77
	v_add_f16_e32 v75, v78, v75
	v_mul_f16_e32 v78, 0xb5ac, v79
	v_fma_f16 v152, v79, s4, v151
	v_add_f16_e32 v147, v149, v147
	v_fma_f16 v149, v79, s4, -v151
	v_add_f16_e32 v133, v135, v133
	v_fma_f16 v135, v79, s6, -v137
	;; [unrolled: 2-line block ×4, first 2 shown]
	v_fma_f16 v79, v77, s26, v78
	s_movk_i32 s22, 0x394e
	v_add_f16_e32 v75, v79, v75
	v_mul_f16_e32 v79, 0xb9fd, v82
	v_fma_f16 v81, v80, s22, v79
	s_movk_i32 s27, 0x33a8
	v_add_f16_e32 v148, v152, v148
	v_mul_f16_e32 v152, 0xbb7b, v80
	v_add_f16_e32 v75, v81, v75
	v_mul_f16_e32 v81, 0xbbc4, v85
	v_fma_f16 v153, v82, s5, v152
	v_add_f16_e32 v147, v149, v147
	v_fma_f16 v149, v82, s5, -v152
	v_add_f16_e32 v133, v135, v133
	v_fma_f16 v135, v82, s20, -v138
	;; [unrolled: 2-line block ×4, first 2 shown]
	v_fma_f16 v82, v83, s27, v81
	s_mov_b32 s22, 0xb770
	v_add_f16_e32 v31, v31, v30
	s_mov_b32 s7, 0xba95
	v_add_f16_e32 v148, v153, v148
	v_mul_f16_e32 v153, 0x3bf1, v83
	v_add_f16_e32 v75, v82, v75
	v_mul_f16_e32 v82, 0xb770, v87
	v_add_f16_e32 v31, v32, v31
	v_add_f16_e32 v32, v58, v57
	v_fma_f16 v15, v15, s22, v69
	s_mov_b32 s21, 0xbbf1
	v_fma_f16 v154, v85, s19, v153
	v_add_f16_e32 v147, v149, v147
	v_fma_f16 v149, v85, s19, -v153
	v_add_f16_e32 v133, v135, v133
	v_fma_f16 v135, v85, s5, -v139
	;; [unrolled: 2-line block ×4, first 2 shown]
	v_fma_f16 v84, v86, s20, v82
	v_mul_f16_e32 v85, 0xba95, v91
	v_add_f16_e32 v31, v33, v31
	v_add_f16_e32 v32, v60, v32
	;; [unrolled: 1-line block ×3, first 2 shown]
	v_fma_f16 v33, v71, s7, v73
	s_mov_b32 s16, 0xbb7b
	v_add_f16_e32 v148, v154, v148
	v_mul_f16_e32 v154, 0xb3a8, v87
	v_add_f16_e32 v84, v30, v84
	v_fma_f16 v87, v90, s4, v85
	v_add_f16_e32 v32, v59, v32
	v_add_f16_e32 v15, v33, v15
	v_fma_f16 v33, v74, s21, v76
	s_mov_b32 s23, 0xb94e
	v_add_f16_e32 v84, v87, v84
	v_mul_f16_e32 v87, 0xbbf1, v94
	v_add_f16_e32 v31, v34, v31
	v_add_f16_e32 v32, v62, v32
	;; [unrolled: 1-line block ×3, first 2 shown]
	v_fma_f16 v33, v77, s16, v78
	s_mov_b32 s17, 0xb3a8
	v_fma_f16 v155, v86, s6, -v154
	v_mul_f16_e32 v156, 0x3770, v91
	v_fma_f16 v88, v93, s19, v87
	v_add_f16_e32 v31, v35, v31
	v_add_f16_e32 v32, v61, v32
	;; [unrolled: 1-line block ×3, first 2 shown]
	v_fma_f16 v33, v80, s23, v79
	v_add_f16_e32 v155, v30, v155
	v_fma_f16 v157, v90, s20, -v156
	v_add_f16_e32 v84, v88, v84
	v_mul_f16_e32 v88, 0xbb7b, v97
	v_add_f16_e32 v31, v36, v31
	v_add_f16_e32 v32, v63, v32
	;; [unrolled: 1-line block ×3, first 2 shown]
	v_fma_f16 v33, v83, s17, v81
	v_add_f16_e32 v155, v157, v155
	v_mul_f16_e32 v157, 0xb94e, v94
	v_add_f16_e32 v147, v149, v147
	v_fma_f16 v149, v86, s6, v154
	v_add_f16_e32 v133, v135, v133
	v_fma_f16 v135, v86, s18, v140
	;; [unrolled: 2-line block ×4, first 2 shown]
	v_fma_f16 v91, v96, s5, v88
	v_add_f16_e32 v31, v37, v31
	v_add_f16_e32 v32, v64, v32
	;; [unrolled: 1-line block ×3, first 2 shown]
	v_fma_f16 v33, v86, s20, -v82
	v_fma_f16 v158, v93, s18, -v157
	v_add_f16_e32 v149, v30, v149
	v_add_f16_e32 v135, v30, v135
	;; [unrolled: 1-line block ×4, first 2 shown]
	v_fma_f16 v108, v90, s6, v114
	v_add_f16_e32 v84, v91, v84
	v_mul_f16_e32 v91, 0xb94e, v100
	v_add_f16_e32 v31, v38, v31
	v_add_f16_e32 v32, v66, v32
	;; [unrolled: 1-line block ×3, first 2 shown]
	v_fma_f16 v33, v90, s4, -v85
	v_add_f16_e32 v155, v158, v155
	v_mul_f16_e32 v158, 0x3a95, v97
	v_fma_f16 v136, v90, s19, v142
	v_fma_f16 v122, v90, s18, v128
	v_add_f16_e32 v107, v108, v107
	v_fma_f16 v108, v93, s5, v115
	v_fma_f16 v92, v99, s18, v91
	v_add_f16_e32 v31, v39, v31
	v_add_f16_e32 v32, v65, v32
	;; [unrolled: 1-line block ×3, first 2 shown]
	v_fma_f16 v33, v93, s19, -v87
	v_fma_f16 v159, v96, s4, -v158
	v_fma_f16 v150, v90, s20, v156
	v_add_f16_e32 v135, v136, v135
	v_fma_f16 v136, v93, s4, v143
	v_add_f16_e32 v121, v122, v121
	;; [unrolled: 2-line block ×4, first 2 shown]
	v_mul_f16_e32 v92, 0xb3a8, v103
	v_add_f16_e32 v31, v40, v31
	v_add_f16_e32 v32, v68, v32
	;; [unrolled: 1-line block ×3, first 2 shown]
	v_fma_f16 v33, v96, s5, -v88
	v_add_f16_e32 v155, v159, v155
	v_mul_f16_e32 v159, 0xbb7b, v100
	v_add_f16_e32 v149, v150, v149
	v_fma_f16 v150, v93, s18, v157
	v_add_f16_e32 v135, v136, v135
	v_fma_f16 v136, v96, s6, v144
	;; [unrolled: 2-line block ×4, first 2 shown]
	v_fma_f16 v94, v102, s6, v92
	v_add_f16_e32 v31, v41, v31
	v_add_f16_e32 v32, v67, v32
	;; [unrolled: 1-line block ×3, first 2 shown]
	v_fma_f16 v33, v99, s18, -v91
	v_fma_f16 v160, v99, s5, -v159
	v_add_f16_e32 v149, v150, v149
	v_fma_f16 v150, v96, s4, v158
	v_add_f16_e32 v135, v136, v135
	v_fma_f16 v136, v99, s20, v145
	;; [unrolled: 2-line block ×4, first 2 shown]
	v_add_f16_e32 v84, v94, v84
	v_add_f16_e32 v31, v43, v31
	;; [unrolled: 1-line block ×4, first 2 shown]
	v_fma_f16 v33, v102, s6, -v92
	v_add_f16_e32 v155, v160, v155
	v_mul_f16_e32 v160, 0x3bf1, v103
	v_add_f16_e32 v149, v150, v149
	v_fma_f16 v150, v99, s5, v159
	v_add_f16_e32 v135, v136, v135
	v_fma_f16 v136, v102, s5, v146
	;; [unrolled: 2-line block ×3, first 2 shown]
	v_add_f16_e32 v107, v108, v107
	v_add_f16_e32 v30, v33, v30
	v_lshlrev_b32_e32 v21, 2, v21
	v_pack_b32_f16 v33, v84, v75
	v_pack_b32_f16 v31, v31, v32
	v_fma_f16 v161, v102, s19, -v160
	v_add_f16_e32 v149, v150, v149
	v_fma_f16 v150, v102, s19, v160
	v_add_f16_e32 v135, v136, v135
	v_add_f16_e32 v121, v122, v121
	ds_write2_b32 v21, v31, v33 offset1:1
	v_pack_b32_f16 v31, v107, v105
	v_pack_b32_f16 v17, v72, v17
	v_add_f16_e32 v155, v161, v155
	v_add_f16_e32 v149, v150, v149
	ds_write2_b32 v21, v17, v31 offset0:2 offset1:3
	v_pack_b32_f16 v17, v135, v133
	v_pack_b32_f16 v31, v121, v119
	ds_write2_b32 v21, v31, v17 offset0:4 offset1:5
	v_pack_b32_f16 v17, v155, v148
	v_pack_b32_f16 v31, v149, v147
	;; [unrolled: 3-line block ×4, first 2 shown]
	v_pack_b32_f16 v15, v30, v15
	ds_write2_b32 v21, v31, v17 offset0:10 offset1:11
	ds_write_b32 v21, v15 offset:48
.LBB0_13:
	s_or_b64 exec, exec, s[0:1]
	v_add_u32_e32 v15, 0x900, v11
	s_waitcnt lgkmcnt(0)
	s_barrier
	ds_read2_b32 v[34:35], v15 offset0:48 offset1:204
	v_add_u32_e32 v17, 0x1200, v11
	ds_read2_b32 v[36:37], v17 offset0:96 offset1:252
	v_add_u32_e32 v31, 0xe00, v11
	ds_read2_b32 v[40:41], v31 offset0:40 offset1:196
	s_waitcnt lgkmcnt(2)
	v_lshrrev_b32_e32 v58, 16, v34
	v_mul_f16_sdwa v69, v22, v58 dst_sel:DWORD dst_unused:UNUSED_PAD src0_sel:WORD_1 src1_sel:DWORD
	s_waitcnt lgkmcnt(1)
	v_lshrrev_b32_e32 v59, 16, v36
	v_fma_f16 v69, v22, v34, v69
	v_mul_f16_sdwa v34, v22, v34 dst_sel:DWORD dst_unused:UNUSED_PAD src0_sel:WORD_1 src1_sel:DWORD
	v_fma_f16 v22, v22, v58, -v34
	v_mul_f16_sdwa v34, v23, v59 dst_sel:DWORD dst_unused:UNUSED_PAD src0_sel:WORD_1 src1_sel:DWORD
	v_add_u32_e32 v30, 0x1800, v11
	v_lshrrev_b32_e32 v61, 16, v35
	v_fma_f16 v34, v23, v36, v34
	v_mul_f16_sdwa v36, v23, v36 dst_sel:DWORD dst_unused:UNUSED_PAD src0_sel:WORD_1 src1_sel:DWORD
	ds_read2_b32 v[42:43], v30 offset0:24 offset1:180
	v_fma_f16 v23, v23, v59, -v36
	v_mul_f16_sdwa v36, v26, v61 dst_sel:DWORD dst_unused:UNUSED_PAD src0_sel:WORD_1 src1_sel:DWORD
	v_lshrrev_b32_e32 v62, 16, v37
	v_fma_f16 v36, v26, v35, v36
	v_mul_f16_sdwa v35, v26, v35 dst_sel:DWORD dst_unused:UNUSED_PAD src0_sel:WORD_1 src1_sel:DWORD
	v_fma_f16 v26, v26, v61, -v35
	v_mul_f16_sdwa v35, v27, v62 dst_sel:DWORD dst_unused:UNUSED_PAD src0_sel:WORD_1 src1_sel:DWORD
	s_waitcnt lgkmcnt(1)
	v_lshrrev_b32_e32 v64, 16, v40
	v_fma_f16 v35, v27, v37, v35
	v_mul_f16_sdwa v37, v27, v37 dst_sel:DWORD dst_unused:UNUSED_PAD src0_sel:WORD_1 src1_sel:DWORD
	v_fma_f16 v27, v27, v62, -v37
	v_mul_f16_sdwa v37, v24, v64 dst_sel:DWORD dst_unused:UNUSED_PAD src0_sel:WORD_1 src1_sel:DWORD
	s_waitcnt lgkmcnt(0)
	v_lshrrev_b32_e32 v65, 16, v42
	v_fma_f16 v37, v24, v40, v37
	v_mul_f16_sdwa v40, v24, v40 dst_sel:DWORD dst_unused:UNUSED_PAD src0_sel:WORD_1 src1_sel:DWORD
	v_fma_f16 v24, v24, v64, -v40
	v_mul_f16_sdwa v40, v25, v65 dst_sel:DWORD dst_unused:UNUSED_PAD src0_sel:WORD_1 src1_sel:DWORD
	ds_read2_b32 v[32:33], v11 offset1:156
	v_lshrrev_b32_e32 v67, 16, v41
	v_fma_f16 v40, v25, v42, v40
	v_mul_f16_sdwa v42, v25, v42 dst_sel:DWORD dst_unused:UNUSED_PAD src0_sel:WORD_1 src1_sel:DWORD
	v_fma_f16 v25, v25, v65, -v42
	v_mul_f16_sdwa v42, v28, v67 dst_sel:DWORD dst_unused:UNUSED_PAD src0_sel:WORD_1 src1_sel:DWORD
	v_lshrrev_b32_e32 v68, 16, v43
	v_fma_f16 v42, v28, v41, v42
	v_mul_f16_sdwa v41, v28, v41 dst_sel:DWORD dst_unused:UNUSED_PAD src0_sel:WORD_1 src1_sel:DWORD
	v_fma_f16 v28, v28, v67, -v41
	v_mul_f16_sdwa v41, v29, v68 dst_sel:DWORD dst_unused:UNUSED_PAD src0_sel:WORD_1 src1_sel:DWORD
	v_fma_f16 v41, v29, v43, v41
	v_mul_f16_sdwa v43, v29, v43 dst_sel:DWORD dst_unused:UNUSED_PAD src0_sel:WORD_1 src1_sel:DWORD
	v_add_f16_e32 v58, v69, v34
	s_waitcnt lgkmcnt(0)
	v_lshrrev_b32_e32 v57, 16, v32
	v_add_u32_e32 v21, 0x400, v11
	v_fma_f16 v29, v29, v68, -v43
	v_add_f16_e32 v43, v32, v69
	v_fma_f16 v32, v58, -0.5, v32
	v_sub_f16_e32 v58, v22, v23
	s_mov_b32 s1, 0xbaee
	s_movk_i32 s0, 0x3aee
	ds_read2_b32 v[38:39], v21 offset0:56 offset1:212
	v_fma_f16 v59, v58, s1, v32
	v_fma_f16 v32, v58, s0, v32
	v_add_f16_e32 v58, v57, v22
	v_add_f16_e32 v22, v22, v23
	;; [unrolled: 1-line block ×3, first 2 shown]
	v_fma_f16 v22, v22, -0.5, v57
	v_sub_f16_e32 v23, v69, v34
	v_add_f16_e32 v57, v36, v35
	v_lshrrev_b32_e32 v60, 16, v33
	v_add_f16_e32 v43, v43, v34
	v_fma_f16 v34, v23, s0, v22
	v_fma_f16 v22, v23, s1, v22
	v_add_f16_e32 v23, v33, v36
	v_fma_f16 v33, v57, -0.5, v33
	v_sub_f16_e32 v57, v26, v27
	v_fma_f16 v61, v57, s1, v33
	v_fma_f16 v33, v57, s0, v33
	v_add_f16_e32 v57, v60, v26
	v_add_f16_e32 v26, v26, v27
	;; [unrolled: 1-line block ×3, first 2 shown]
	v_fma_f16 v26, v26, -0.5, v60
	v_sub_f16_e32 v27, v36, v35
	v_add_f16_e32 v36, v37, v40
	s_waitcnt lgkmcnt(0)
	v_lshrrev_b32_e32 v63, 16, v38
	v_add_f16_e32 v23, v23, v35
	v_fma_f16 v35, v27, s0, v26
	v_fma_f16 v26, v27, s1, v26
	v_add_f16_e32 v27, v38, v37
	v_fma_f16 v36, v36, -0.5, v38
	v_sub_f16_e32 v38, v24, v25
	v_fma_f16 v60, v38, s1, v36
	v_fma_f16 v36, v38, s0, v36
	v_add_f16_e32 v38, v63, v24
	v_add_f16_e32 v24, v24, v25
	;; [unrolled: 1-line block ×4, first 2 shown]
	v_fma_f16 v24, v24, -0.5, v63
	v_sub_f16_e32 v25, v37, v40
	v_add_f16_e32 v40, v42, v41
	v_lshrrev_b32_e32 v66, 16, v39
	v_fma_f16 v37, v25, s0, v24
	v_fma_f16 v24, v25, s1, v24
	v_add_f16_e32 v25, v39, v42
	v_fma_f16 v39, v40, -0.5, v39
	v_sub_f16_e32 v40, v28, v29
	v_fma_f16 v62, v40, s1, v39
	v_fma_f16 v39, v40, s0, v39
	v_add_f16_e32 v40, v66, v28
	v_add_f16_e32 v28, v28, v29
	;; [unrolled: 1-line block ×3, first 2 shown]
	v_fma_f16 v28, v28, -0.5, v66
	v_sub_f16_e32 v29, v42, v41
	v_add_f16_e32 v25, v25, v41
	v_fma_f16 v41, v29, s0, v28
	v_fma_f16 v28, v29, s1, v28
	v_pack_b32_f16 v29, v43, v58
	v_pack_b32_f16 v34, v59, v34
	;; [unrolled: 1-line block ×3, first 2 shown]
	s_barrier
	ds_write2_b32 v19, v29, v34 offset1:13
	ds_write_b32 v19, v22 offset:104
	v_pack_b32_f16 v19, v23, v57
	v_pack_b32_f16 v22, v61, v35
	ds_write2_b32 v44, v19, v22 offset1:13
	v_pack_b32_f16 v19, v33, v26
	ds_write_b32 v44, v19 offset:104
	v_pack_b32_f16 v19, v27, v38
	v_pack_b32_f16 v22, v60, v37
	ds_write2_b32 v45, v19, v22 offset1:13
	v_pack_b32_f16 v19, v36, v24
	;; [unrolled: 5-line block ×3, first 2 shown]
	ds_write_b32 v46, v19 offset:104
	s_waitcnt lgkmcnt(0)
	s_barrier
	ds_read2_b32 v[22:23], v11 offset1:156
	ds_read2_b32 v[24:25], v21 offset0:56 offset1:212
	ds_read2_b32 v[26:27], v31 offset0:40 offset1:196
	;; [unrolled: 1-line block ×5, first 2 shown]
	s_waitcnt lgkmcnt(4)
	v_lshrrev_b32_e32 v36, 16, v25
	v_mul_f16_sdwa v57, v4, v36 dst_sel:DWORD dst_unused:UNUSED_PAD src0_sel:WORD_1 src1_sel:DWORD
	s_waitcnt lgkmcnt(3)
	v_lshrrev_b32_e32 v37, 16, v26
	v_fma_f16 v57, v4, v25, v57
	v_mul_f16_sdwa v25, v4, v25 dst_sel:DWORD dst_unused:UNUSED_PAD src0_sel:WORD_1 src1_sel:DWORD
	v_fma_f16 v4, v4, v36, -v25
	v_mul_f16_sdwa v25, v5, v37 dst_sel:DWORD dst_unused:UNUSED_PAD src0_sel:WORD_1 src1_sel:DWORD
	s_waitcnt lgkmcnt(2)
	v_lshrrev_b32_e32 v38, 16, v29
	v_fma_f16 v25, v5, v26, v25
	v_mul_f16_sdwa v26, v5, v26 dst_sel:DWORD dst_unused:UNUSED_PAD src0_sel:WORD_1 src1_sel:DWORD
	v_fma_f16 v5, v5, v37, -v26
	;; [unrolled: 6-line block ×3, first 2 shown]
	v_mul_f16_sdwa v29, v8, v40 dst_sel:DWORD dst_unused:UNUSED_PAD src0_sel:WORD_1 src1_sel:DWORD
	v_lshrrev_b32_e32 v41, 16, v27
	v_fma_f16 v29, v8, v32, v29
	v_mul_f16_sdwa v32, v8, v32 dst_sel:DWORD dst_unused:UNUSED_PAD src0_sel:WORD_1 src1_sel:DWORD
	v_fma_f16 v8, v8, v40, -v32
	v_mul_f16_sdwa v32, v9, v41 dst_sel:DWORD dst_unused:UNUSED_PAD src0_sel:WORD_1 src1_sel:DWORD
	s_waitcnt lgkmcnt(0)
	v_lshrrev_b32_e32 v42, 16, v34
	v_fma_f16 v32, v9, v27, v32
	v_mul_f16_sdwa v27, v9, v27 dst_sel:DWORD dst_unused:UNUSED_PAD src0_sel:WORD_1 src1_sel:DWORD
	v_fma_f16 v9, v9, v41, -v27
	v_mul_f16_sdwa v27, v10, v42 dst_sel:DWORD dst_unused:UNUSED_PAD src0_sel:WORD_1 src1_sel:DWORD
	v_lshrrev_b32_e32 v44, 16, v33
	v_fma_f16 v27, v10, v34, v27
	v_mul_f16_sdwa v34, v10, v34 dst_sel:DWORD dst_unused:UNUSED_PAD src0_sel:WORD_1 src1_sel:DWORD
	v_fma_f16 v10, v10, v42, -v34
	v_mul_f16_sdwa v34, v12, v44 dst_sel:DWORD dst_unused:UNUSED_PAD src0_sel:WORD_1 src1_sel:DWORD
	;; [unrolled: 5-line block ×3, first 2 shown]
	v_lshrrev_b32_e32 v46, 16, v35
	v_fma_f16 v33, v13, v28, v33
	v_mul_f16_sdwa v28, v13, v28 dst_sel:DWORD dst_unused:UNUSED_PAD src0_sel:WORD_1 src1_sel:DWORD
	v_lshrrev_b32_e32 v19, 16, v22
	v_fma_f16 v13, v13, v45, -v28
	v_mul_f16_sdwa v28, v14, v46 dst_sel:DWORD dst_unused:UNUSED_PAD src0_sel:WORD_1 src1_sel:DWORD
	v_fma_f16 v28, v14, v35, v28
	v_mul_f16_sdwa v35, v14, v35 dst_sel:DWORD dst_unused:UNUSED_PAD src0_sel:WORD_1 src1_sel:DWORD
	v_sub_f16_e32 v25, v22, v25
	v_sub_f16_e32 v5, v19, v5
	;; [unrolled: 1-line block ×4, first 2 shown]
	v_lshrrev_b32_e32 v39, 16, v23
	v_fma_f16 v14, v14, v46, -v35
	v_fma_f16 v22, v22, 2.0, -v25
	v_fma_f16 v19, v19, 2.0, -v5
	;; [unrolled: 1-line block ×4, first 2 shown]
	v_sub_f16_e32 v35, v22, v35
	v_sub_f16_e32 v4, v19, v4
	v_add_f16_e32 v6, v25, v6
	v_sub_f16_e32 v26, v5, v26
	v_sub_f16_e32 v32, v23, v32
	;; [unrolled: 1-line block ×5, first 2 shown]
	v_lshrrev_b32_e32 v43, 16, v24
	v_fma_f16 v22, v22, 2.0, -v35
	v_fma_f16 v19, v19, 2.0, -v4
	;; [unrolled: 1-line block ×8, first 2 shown]
	v_sub_f16_e32 v29, v23, v29
	v_sub_f16_e32 v8, v36, v8
	v_add_f16_e32 v10, v32, v10
	v_sub_f16_e32 v27, v9, v27
	v_sub_f16_e32 v33, v24, v33
	v_sub_f16_e32 v13, v43, v13
	v_sub_f16_e32 v28, v34, v28
	v_sub_f16_e32 v14, v12, v14
	v_pack_b32_f16 v19, v22, v19
	v_pack_b32_f16 v5, v25, v5
	v_fma_f16 v23, v23, 2.0, -v29
	v_fma_f16 v36, v36, 2.0, -v8
	;; [unrolled: 1-line block ×8, first 2 shown]
	s_barrier
	ds_write2_b32 v48, v19, v5 offset1:39
	v_pack_b32_f16 v4, v35, v4
	v_pack_b32_f16 v5, v6, v26
	v_sub_f16_e32 v34, v24, v34
	v_sub_f16_e32 v12, v37, v12
	v_add_f16_e32 v14, v33, v14
	v_sub_f16_e32 v28, v13, v28
	ds_write2_b32 v48, v4, v5 offset0:78 offset1:117
	v_pack_b32_f16 v4, v23, v36
	v_pack_b32_f16 v5, v32, v9
	v_fma_f16 v24, v24, 2.0, -v34
	v_fma_f16 v37, v37, 2.0, -v12
	;; [unrolled: 1-line block ×4, first 2 shown]
	ds_write2_b32 v49, v4, v5 offset1:39
	v_pack_b32_f16 v4, v29, v8
	v_pack_b32_f16 v5, v10, v27
	ds_write2_b32 v49, v4, v5 offset0:78 offset1:117
	v_pack_b32_f16 v4, v24, v37
	v_pack_b32_f16 v5, v33, v13
	ds_write2_b32 v50, v4, v5 offset1:39
	v_pack_b32_f16 v4, v34, v12
	v_pack_b32_f16 v5, v14, v28
	ds_write2_b32 v50, v4, v5 offset0:78 offset1:117
	s_waitcnt lgkmcnt(0)
	s_barrier
	ds_read2_b32 v[4:5], v11 offset1:156
	ds_read2_b32 v[8:9], v21 offset0:56 offset1:212
	ds_read2_b32 v[12:13], v15 offset0:48 offset1:204
	;; [unrolled: 1-line block ×5, first 2 shown]
	s_waitcnt lgkmcnt(4)
	v_lshrrev_b32_e32 v10, 16, v8
	v_mul_f16_sdwa v38, v0, v10 dst_sel:DWORD dst_unused:UNUSED_PAD src0_sel:WORD_1 src1_sel:DWORD
	s_waitcnt lgkmcnt(3)
	v_lshrrev_b32_e32 v14, 16, v12
	v_fma_f16 v38, v0, v8, v38
	v_mul_f16_sdwa v8, v0, v8 dst_sel:DWORD dst_unused:UNUSED_PAD src0_sel:WORD_1 src1_sel:DWORD
	v_fma_f16 v8, v0, v10, -v8
	v_mul_f16_sdwa v10, v1, v14 dst_sel:DWORD dst_unused:UNUSED_PAD src0_sel:WORD_1 src1_sel:DWORD
	s_waitcnt lgkmcnt(2)
	v_lshrrev_b32_e32 v19, 16, v22
	v_fma_f16 v10, v1, v12, v10
	v_mul_f16_sdwa v12, v1, v12 dst_sel:DWORD dst_unused:UNUSED_PAD src0_sel:WORD_1 src1_sel:DWORD
	v_fma_f16 v12, v1, v14, -v12
	;; [unrolled: 6-line block ×4, first 2 shown]
	v_mul_f16_sdwa v28, v47, v29 dst_sel:DWORD dst_unused:UNUSED_PAD src0_sel:WORD_1 src1_sel:DWORD
	v_lshrrev_b32_e32 v33, 16, v9
	v_fma_f16 v28, v47, v26, v28
	v_mul_f16_sdwa v26, v47, v26 dst_sel:DWORD dst_unused:UNUSED_PAD src0_sel:WORD_1 src1_sel:DWORD
	v_fma_f16 v26, v47, v29, -v26
	v_mul_f16_sdwa v29, v0, v33 dst_sel:DWORD dst_unused:UNUSED_PAD src0_sel:WORD_1 src1_sel:DWORD
	v_lshrrev_b32_e32 v34, 16, v13
	v_fma_f16 v29, v0, v9, v29
	v_mul_f16_sdwa v9, v0, v9 dst_sel:DWORD dst_unused:UNUSED_PAD src0_sel:WORD_1 src1_sel:DWORD
	v_fma_f16 v0, v0, v33, -v9
	v_mul_f16_sdwa v9, v1, v34 dst_sel:DWORD dst_unused:UNUSED_PAD src0_sel:WORD_1 src1_sel:DWORD
	v_lshrrev_b32_e32 v35, 16, v23
	v_fma_f16 v9, v1, v13, v9
	v_mul_f16_sdwa v13, v1, v13 dst_sel:DWORD dst_unused:UNUSED_PAD src0_sel:WORD_1 src1_sel:DWORD
	v_fma_f16 v1, v1, v34, -v13
	v_mul_f16_sdwa v13, v2, v35 dst_sel:DWORD dst_unused:UNUSED_PAD src0_sel:WORD_1 src1_sel:DWORD
	v_add_f16_e32 v34, v10, v22
	v_lshrrev_b32_e32 v6, 16, v4
	v_lshrrev_b32_e32 v36, 16, v25
	v_fma_f16 v13, v2, v23, v13
	v_mul_f16_sdwa v23, v2, v23 dst_sel:DWORD dst_unused:UNUSED_PAD src0_sel:WORD_1 src1_sel:DWORD
	v_add_f16_e32 v33, v4, v10
	v_fma_f16 v4, v34, -0.5, v4
	v_sub_f16_e32 v34, v12, v24
	v_fma_f16 v2, v2, v35, -v23
	v_mul_f16_sdwa v23, v3, v36 dst_sel:DWORD dst_unused:UNUSED_PAD src0_sel:WORD_1 src1_sel:DWORD
	v_add_f16_e32 v33, v33, v22
	v_fma_f16 v35, v34, s1, v4
	v_fma_f16 v4, v34, s0, v4
	v_add_f16_e32 v34, v6, v12
	v_sub_f16_e32 v10, v10, v22
	v_add_f16_e32 v22, v14, v28
	v_fma_f16 v23, v3, v25, v23
	v_mul_f16_sdwa v25, v3, v25 dst_sel:DWORD dst_unused:UNUSED_PAD src0_sel:WORD_1 src1_sel:DWORD
	v_add_f16_e32 v34, v34, v24
	v_add_f16_e32 v12, v12, v24
	v_fma_f16 v22, v22, -0.5, v38
	v_sub_f16_e32 v24, v19, v26
	v_fma_f16 v3, v3, v36, -v25
	v_fma_f16 v6, v12, -0.5, v6
	v_fma_f16 v36, v24, s1, v22
	v_fma_f16 v22, v24, s0, v22
	v_add_f16_e32 v24, v8, v19
	v_add_f16_e32 v19, v19, v26
	v_lshrrev_b32_e32 v37, 16, v27
	v_fma_f16 v12, v10, s0, v6
	v_fma_f16 v6, v10, s1, v6
	v_add_f16_e32 v10, v38, v14
	v_fma_f16 v8, v19, -0.5, v8
	v_sub_f16_e32 v14, v14, v28
	v_mul_f16_sdwa v25, v47, v37 dst_sel:DWORD dst_unused:UNUSED_PAD src0_sel:WORD_1 src1_sel:DWORD
	v_fma_f16 v19, v14, s0, v8
	v_fma_f16 v25, v47, v27, v25
	v_mul_f16_sdwa v27, v47, v27 dst_sel:DWORD dst_unused:UNUSED_PAD src0_sel:WORD_1 src1_sel:DWORD
	v_add_f16_e32 v24, v24, v26
	v_fma_f16 v8, v14, s1, v8
	v_mul_f16_e32 v26, 0xbaee, v19
	v_mul_f16_e32 v19, 0.5, v19
	v_fma_f16 v27, v47, v37, -v27
	v_mul_f16_e32 v37, 0xbaee, v8
	v_fma_f16 v19, v36, s0, v19
	v_mul_f16_e32 v8, -0.5, v8
	v_fma_f16 v26, v36, 0.5, v26
	v_add_f16_e32 v36, v12, v19
	v_fma_f16 v8, v22, s0, v8
	v_sub_f16_e32 v12, v12, v19
	v_add_f16_e32 v19, v9, v23
	v_lshrrev_b32_e32 v32, 16, v5
	v_add_f16_e32 v10, v10, v28
	v_fma_f16 v37, v22, -0.5, v37
	v_add_f16_e32 v22, v6, v8
	v_sub_f16_e32 v6, v6, v8
	v_add_f16_e32 v8, v5, v9
	v_fma_f16 v5, v19, -0.5, v5
	v_sub_f16_e32 v19, v1, v3
	v_add_f16_e32 v14, v33, v10
	v_sub_f16_e32 v10, v33, v10
	v_fma_f16 v33, v19, s1, v5
	v_fma_f16 v5, v19, s0, v5
	v_add_f16_e32 v19, v32, v1
	v_add_f16_e32 v1, v1, v3
	;; [unrolled: 1-line block ×4, first 2 shown]
	v_fma_f16 v1, v1, -0.5, v32
	v_sub_f16_e32 v3, v9, v23
	v_add_f16_e32 v23, v13, v25
	v_fma_f16 v9, v3, s0, v1
	v_fma_f16 v1, v3, s1, v1
	v_add_f16_e32 v3, v29, v13
	v_fma_f16 v23, v23, -0.5, v29
	v_sub_f16_e32 v29, v2, v27
	v_fma_f16 v32, v29, s1, v23
	v_fma_f16 v23, v29, s0, v23
	v_add_f16_e32 v29, v0, v2
	v_add_f16_e32 v2, v2, v27
	v_fma_f16 v0, v2, -0.5, v0
	v_sub_f16_e32 v2, v13, v25
	v_fma_f16 v13, v2, s0, v0
	v_fma_f16 v0, v2, s1, v0
	v_add_f16_e32 v39, v34, v24
	v_sub_f16_e32 v24, v34, v24
	v_add_f16_e32 v3, v3, v25
	v_mul_f16_e32 v25, 0xbaee, v13
	v_mul_f16_e32 v34, 0xbaee, v0
	v_mul_f16_e32 v13, 0.5, v13
	v_mul_f16_e32 v0, -0.5, v0
	v_add_f16_e32 v28, v35, v26
	v_fma_f16 v13, v32, s0, v13
	v_fma_f16 v0, v23, s0, v0
	v_add_f16_e32 v38, v4, v37
	v_fma_f16 v25, v32, 0.5, v25
	v_fma_f16 v34, v23, -0.5, v34
	v_add_f16_e32 v32, v9, v13
	v_add_f16_e32 v23, v1, v0
	v_sub_f16_e32 v9, v9, v13
	v_sub_f16_e32 v0, v1, v0
	v_pack_b32_f16 v1, v14, v39
	v_pack_b32_f16 v13, v28, v36
	v_sub_f16_e32 v26, v35, v26
	v_sub_f16_e32 v4, v4, v37
	v_add_f16_e32 v29, v29, v27
	s_barrier
	ds_write2_b32 v11, v1, v13 offset1:156
	v_pack_b32_f16 v1, v38, v22
	v_pack_b32_f16 v10, v10, v24
	v_add_f16_e32 v2, v8, v3
	v_add_f16_e32 v27, v33, v25
	v_add_f16_e32 v37, v19, v29
	ds_write2_b32 v21, v1, v10 offset0:56 offset1:212
	v_pack_b32_f16 v1, v26, v12
	v_pack_b32_f16 v4, v4, v6
	v_add_f16_e32 v35, v5, v34
	v_sub_f16_e32 v3, v8, v3
	v_sub_f16_e32 v19, v19, v29
	ds_write2_b32 v15, v1, v4 offset0:48 offset1:204
	v_pack_b32_f16 v1, v2, v37
	v_pack_b32_f16 v2, v27, v32
	v_sub_f16_e32 v8, v33, v25
	v_sub_f16_e32 v5, v5, v34
	ds_write2_b32 v31, v1, v2 offset0:40 offset1:196
	v_pack_b32_f16 v1, v35, v23
	v_pack_b32_f16 v2, v3, v19
	ds_write2_b32 v17, v1, v2 offset0:96 offset1:252
	v_pack_b32_f16 v1, v8, v9
	v_pack_b32_f16 v0, v5, v0
	ds_write2_b32 v30, v1, v0 offset0:24 offset1:180
	s_waitcnt lgkmcnt(0)
	s_barrier
	ds_read2_b32 v[0:1], v11 offset1:156
	ds_read2_b32 v[2:3], v31 offset0:40 offset1:196
	ds_read2_b32 v[8:9], v17 offset0:96 offset1:252
	ds_read2_b32 v[4:5], v21 offset0:56 offset1:212
	ds_read2_b32 v[12:13], v15 offset0:48 offset1:204
	ds_read2_b32 v[22:23], v30 offset0:24 offset1:180
	s_waitcnt lgkmcnt(5)
	v_lshrrev_b32_e32 v6, 16, v0
	s_waitcnt lgkmcnt(4)
	v_lshrrev_b32_e32 v10, 16, v2
	v_mul_f16_sdwa v34, v51, v10 dst_sel:DWORD dst_unused:UNUSED_PAD src0_sel:WORD_1 src1_sel:DWORD
	v_lshrrev_b32_e32 v19, 16, v3
	v_fma_f16 v34, v51, v2, v34
	v_mul_f16_sdwa v2, v51, v2 dst_sel:DWORD dst_unused:UNUSED_PAD src0_sel:WORD_1 src1_sel:DWORD
	v_fma_f16 v2, v51, v10, -v2
	v_mul_f16_sdwa v10, v52, v19 dst_sel:DWORD dst_unused:UNUSED_PAD src0_sel:WORD_1 src1_sel:DWORD
	s_waitcnt lgkmcnt(3)
	v_lshrrev_b32_e32 v25, 16, v8
	v_fma_f16 v10, v52, v3, v10
	v_mul_f16_sdwa v3, v52, v3 dst_sel:DWORD dst_unused:UNUSED_PAD src0_sel:WORD_1 src1_sel:DWORD
	v_fma_f16 v3, v52, v19, -v3
	v_mul_f16_sdwa v19, v53, v25 dst_sel:DWORD dst_unused:UNUSED_PAD src0_sel:WORD_1 src1_sel:DWORD
	v_lshrrev_b32_e32 v27, 16, v9
	v_fma_f16 v19, v53, v8, v19
	v_mul_f16_sdwa v8, v53, v8 dst_sel:DWORD dst_unused:UNUSED_PAD src0_sel:WORD_1 src1_sel:DWORD
	v_fma_f16 v8, v53, v25, -v8
	v_mul_f16_sdwa v25, v54, v27 dst_sel:DWORD dst_unused:UNUSED_PAD src0_sel:WORD_1 src1_sel:DWORD
	s_waitcnt lgkmcnt(0)
	v_lshrrev_b32_e32 v29, 16, v22
	v_fma_f16 v25, v54, v9, v25
	v_mul_f16_sdwa v9, v54, v9 dst_sel:DWORD dst_unused:UNUSED_PAD src0_sel:WORD_1 src1_sel:DWORD
	v_fma_f16 v9, v54, v27, -v9
	v_mul_f16_sdwa v27, v55, v29 dst_sel:DWORD dst_unused:UNUSED_PAD src0_sel:WORD_1 src1_sel:DWORD
	v_lshrrev_b32_e32 v33, 16, v23
	v_fma_f16 v27, v55, v22, v27
	v_mul_f16_sdwa v22, v55, v22 dst_sel:DWORD dst_unused:UNUSED_PAD src0_sel:WORD_1 src1_sel:DWORD
	v_fma_f16 v22, v55, v29, -v22
	v_mul_f16_sdwa v29, v56, v33 dst_sel:DWORD dst_unused:UNUSED_PAD src0_sel:WORD_1 src1_sel:DWORD
	v_lshrrev_b32_e32 v14, 16, v1
	v_fma_f16 v29, v56, v23, v29
	v_mul_f16_sdwa v23, v56, v23 dst_sel:DWORD dst_unused:UNUSED_PAD src0_sel:WORD_1 src1_sel:DWORD
	v_fma_f16 v23, v56, v33, -v23
	v_sub_f16_e32 v33, v0, v34
	v_sub_f16_e32 v2, v6, v2
	;; [unrolled: 1-line block ×4, first 2 shown]
	v_lshrrev_b32_e32 v24, 16, v4
	v_lshrrev_b32_e32 v26, 16, v5
	v_fma_f16 v0, v0, 2.0, -v33
	v_fma_f16 v6, v6, 2.0, -v2
	;; [unrolled: 1-line block ×4, first 2 shown]
	v_sub_f16_e32 v19, v4, v19
	v_sub_f16_e32 v8, v24, v8
	;; [unrolled: 1-line block ×4, first 2 shown]
	v_pack_b32_f16 v0, v0, v6
	v_pack_b32_f16 v1, v1, v14
	v_lshrrev_b32_e32 v28, 16, v12
	v_lshrrev_b32_e32 v32, 16, v13
	v_fma_f16 v4, v4, 2.0, -v19
	v_fma_f16 v24, v24, 2.0, -v8
	;; [unrolled: 1-line block ×4, first 2 shown]
	v_pack_b32_f16 v2, v33, v2
	ds_write2_b32 v11, v0, v1 offset1:156
	v_pack_b32_f16 v0, v10, v3
	v_sub_f16_e32 v27, v12, v27
	v_sub_f16_e32 v22, v28, v22
	v_sub_f16_e32 v29, v13, v29
	v_sub_f16_e32 v23, v32, v23
	ds_write2_b32 v31, v2, v0 offset0:40 offset1:196
	v_pack_b32_f16 v0, v4, v24
	v_pack_b32_f16 v2, v5, v26
	v_fma_f16 v12, v12, 2.0, -v27
	v_fma_f16 v28, v28, 2.0, -v22
	;; [unrolled: 1-line block ×4, first 2 shown]
	v_pack_b32_f16 v1, v19, v8
	ds_write2_b32 v21, v0, v2 offset0:56 offset1:212
	v_pack_b32_f16 v0, v25, v9
	ds_write2_b32 v17, v1, v0 offset0:96 offset1:252
	v_pack_b32_f16 v0, v12, v28
	v_pack_b32_f16 v2, v13, v32
	;; [unrolled: 1-line block ×3, first 2 shown]
	ds_write2_b32 v15, v0, v2 offset0:48 offset1:204
	v_pack_b32_f16 v0, v29, v23
	ds_write2_b32 v30, v1, v0 offset0:24 offset1:180
	s_waitcnt lgkmcnt(0)
	s_barrier
	s_and_b64 exec, exec, s[2:3]
	s_cbranch_execz .LBB0_15
; %bb.14:
	global_load_dword v12, v16, s[12:13]
	ds_read_b32 v13, v11
	global_load_dword v9, v16, s[12:13] offset:576
	global_load_dword v10, v16, s[12:13] offset:1152
	;; [unrolled: 1-line block ×3, first 2 shown]
	v_mad_u64_u32 v[4:5], s[0:1], s10, v20, 0
	v_mov_b32_e32 v6, v5
	s_waitcnt lgkmcnt(0)
	v_lshrrev_b32_e32 v5, 16, v13
	v_mov_b32_e32 v17, 0
	s_movk_i32 s0, 0x1000
	v_lshl_add_u64 v[0:1], s[12:13], 0, v[16:17]
	s_mov_b32 s6, 0x11811812
	v_add_co_u32_e32 v0, vcc, s0, v0
	s_mov_b32 s7, 0x3f418118
	s_movk_i32 s10, 0x1ff
	s_mov_b32 s16, 0x8000
	v_addc_co_u32_e32 v1, vcc, 0, v1, vcc
	v_mov_b32_e32 v2, s14
	s_movk_i32 s14, 0xffe
	v_mov_b32_e32 v8, 0x7c00
	v_mov_b32_e32 v3, s15
	s_movk_i32 s15, 0x40f
	global_load_dword v14, v[0:1], off offset:512
	global_load_dword v15, v[0:1], off offset:1088
	;; [unrolled: 1-line block ×4, first 2 shown]
	s_waitcnt vmcnt(7)
	v_mul_f16_sdwa v21, v5, v12 dst_sel:DWORD dst_unused:UNUSED_PAD src0_sel:DWORD src1_sel:WORD_1
	v_mul_f16_sdwa v22, v13, v12 dst_sel:DWORD dst_unused:UNUSED_PAD src0_sel:DWORD src1_sel:WORD_1
	v_fma_f16 v13, v13, v12, v21
	v_fma_f16 v5, v12, v5, -v22
	v_cvt_f32_f16_e32 v21, v13
	v_cvt_f32_f16_e32 v22, v5
	v_mad_u64_u32 v[12:13], s[0:1], s11, v20, v[6:7]
	v_mov_b32_e32 v5, v12
	v_cvt_f64_f32_e32 v[12:13], v21
	v_cvt_f64_f32_e32 v[20:21], v22
	v_mul_f64 v[12:13], v[12:13], s[6:7]
	v_mul_f64 v[20:21], v[20:21], s[6:7]
	v_and_or_b32 v6, v13, s10, v12
	v_lshrrev_b32_e32 v12, 8, v13
	v_bfe_u32 v22, v13, 20, 11
	v_and_b32_sdwa v24, v13, s16 dst_sel:DWORD dst_unused:UNUSED_PAD src0_sel:WORD_1 src1_sel:DWORD
	v_and_or_b32 v13, v21, s10, v20
	v_cmp_ne_u32_e32 vcc, 0, v6
	v_lshrrev_b32_e32 v20, 8, v21
	v_bfe_u32 v23, v21, 20, 11
	v_cndmask_b32_e64 v6, 0, 1, vcc
	v_cmp_ne_u32_e32 vcc, 0, v13
	v_sub_u32_e32 v25, 0x3f1, v22
	v_and_or_b32 v6, v12, s14, v6
	v_cndmask_b32_e64 v13, 0, 1, vcc
	v_sub_u32_e32 v26, 0x3f1, v23
	v_med3_i32 v12, v25, 0, 13
	v_and_or_b32 v13, v20, s14, v13
	v_or_b32_e32 v25, 0x1000, v6
	v_med3_i32 v20, v26, 0, 13
	v_or_b32_e32 v27, 0x1000, v13
	v_lshrrev_b32_e32 v29, v12, v25
	v_add_u32_e32 v22, 0xfffffc10, v22
	v_cmp_ne_u32_e32 vcc, 0, v6
	v_lshrrev_b32_e32 v30, v20, v27
	v_lshlrev_b32_e32 v12, v12, v29
	v_lshl_or_b32 v26, v22, 12, v6
	v_cndmask_b32_e64 v6, 0, 1, vcc
	v_lshlrev_b32_e32 v20, v20, v30
	v_cmp_ne_u32_e32 vcc, v12, v25
	v_add_u32_e32 v23, 0xfffffc10, v23
	v_lshl_or_b32 v28, v23, 12, v13
	v_cndmask_b32_e64 v12, 0, 1, vcc
	v_cmp_ne_u32_e32 vcc, v20, v27
	v_or_b32_e32 v12, v29, v12
	v_lshl_or_b32 v6, v6, 9, v8
	v_cndmask_b32_e64 v20, 0, 1, vcc
	v_cmp_gt_i32_e32 vcc, 1, v22
	v_or_b32_e32 v20, v30, v20
	v_lshl_add_u64 v[2:3], v[4:5], 2, v[2:3]
	v_cndmask_b32_e32 v12, v26, v12, vcc
	v_cmp_gt_i32_e32 vcc, 1, v23
	v_and_b32_e32 v25, 7, v12
	v_cmp_eq_u32_e64 s[0:1], 3, v25
	v_cndmask_b32_e32 v20, v28, v20, vcc
	v_cmp_lt_i32_e32 vcc, 5, v25
	v_lshrrev_b32_e32 v12, 2, v12
	v_and_b32_e32 v26, 7, v20
	s_or_b64 vcc, s[0:1], vcc
	v_cmp_lt_i32_e64 s[2:3], 5, v26
	v_cmp_eq_u32_e64 s[4:5], 3, v26
	v_addc_co_u32_e32 v12, vcc, 0, v12, vcc
	v_lshrrev_b32_e32 v20, 2, v20
	s_or_b64 vcc, s[4:5], s[2:3]
	v_addc_co_u32_e32 v20, vcc, 0, v20, vcc
	v_cmp_gt_i32_e32 vcc, 31, v22
	s_mov_b32 s2, 0xffff
	s_mul_i32 s3, s9, 0x240
	v_cndmask_b32_e32 v12, v8, v12, vcc
	v_cmp_gt_i32_e32 vcc, 31, v23
	s_nop 1
	v_cndmask_b32_e32 v20, v8, v20, vcc
	v_cmp_eq_u32_e32 vcc, s15, v22
	s_nop 1
	v_cndmask_b32_e32 v25, v12, v6, vcc
	v_cmp_ne_u32_e32 vcc, 0, v13
	v_lshrrev_b32_e32 v12, 16, v21
	s_nop 0
	v_cndmask_b32_e64 v6, 0, 1, vcc
	v_lshl_or_b32 v6, v6, 9, v8
	v_cmp_eq_u32_e32 vcc, s15, v23
	s_nop 1
	v_cndmask_b32_e32 v6, v20, v6, vcc
	v_and_or_b32 v26, v12, s16, v6
	v_mad_u64_u32 v[12:13], s[0:1], s8, v18, 0
	v_mov_b32_e32 v6, v13
	v_mad_u64_u32 v[20:21], s[0:1], s9, v18, v[6:7]
	v_add_u32_e32 v6, 0x200, v7
	ds_read2_b32 v[22:23], v6 offset0:16 offset1:160
	v_mov_b32_e32 v13, v20
	v_lshl_add_u64 v[4:5], v[12:13], 2, v[2:3]
	v_bitop3_b32 v6, v24, s2, v25 bitop3:0xc8
	v_lshl_or_b32 v6, v26, 16, v6
	s_waitcnt lgkmcnt(0)
	v_lshrrev_b32_e32 v18, 16, v22
	s_waitcnt vmcnt(6)
	v_mul_f16_sdwa v20, v18, v9 dst_sel:DWORD dst_unused:UNUSED_PAD src0_sel:DWORD src1_sel:WORD_1
	v_fma_f16 v20, v22, v9, v20
	v_cvt_f32_f16_e32 v20, v20
	global_store_dword v[4:5], v6, off
	v_cvt_f64_f32_e32 v[2:3], v20
	v_mul_f64 v[2:3], v[2:3], s[6:7]
	v_and_or_b32 v2, v3, s10, v2
	v_cmp_ne_u32_e32 vcc, 0, v2
	v_lshrrev_b32_e32 v6, 8, v3
	v_bfe_u32 v12, v3, 20, 11
	v_cndmask_b32_e64 v2, 0, 1, vcc
	v_and_or_b32 v2, v6, s14, v2
	v_sub_u32_e32 v13, 0x3f1, v12
	v_or_b32_e32 v6, 0x1000, v2
	v_med3_i32 v13, v13, 0, 13
	v_lshrrev_b32_e32 v20, v13, v6
	v_lshlrev_b32_e32 v13, v13, v20
	v_cmp_ne_u32_e32 vcc, v13, v6
	v_add_u32_e32 v12, 0xfffffc10, v12
	v_lshl_or_b32 v13, v12, 12, v2
	v_cndmask_b32_e64 v6, 0, 1, vcc
	v_or_b32_e32 v6, v20, v6
	v_cmp_gt_i32_e32 vcc, 1, v12
	s_nop 1
	v_cndmask_b32_e32 v6, v13, v6, vcc
	v_and_b32_e32 v13, 7, v6
	v_cmp_lt_i32_e32 vcc, 5, v13
	v_cmp_eq_u32_e64 s[0:1], 3, v13
	v_lshrrev_b32_e32 v6, 2, v6
	s_or_b64 vcc, s[0:1], vcc
	v_mul_f16_sdwa v13, v22, v9 dst_sel:DWORD dst_unused:UNUSED_PAD src0_sel:DWORD src1_sel:WORD_1
	v_addc_co_u32_e32 v6, vcc, 0, v6, vcc
	v_fma_f16 v9, v9, v18, -v13
	v_cmp_gt_i32_e32 vcc, 31, v12
	v_cvt_f32_f16_e32 v9, v9
	s_nop 0
	v_cndmask_b32_e32 v6, v8, v6, vcc
	v_cmp_ne_u32_e32 vcc, 0, v2
	s_nop 1
	v_cndmask_b32_e64 v2, 0, 1, vcc
	v_lshl_or_b32 v2, v2, 9, v8
	v_cmp_eq_u32_e32 vcc, s15, v12
	v_and_b32_sdwa v12, v3, s16 dst_sel:DWORD dst_unused:UNUSED_PAD src0_sel:WORD_1 src1_sel:DWORD
	s_nop 0
	v_cndmask_b32_e32 v6, v6, v2, vcc
	v_cvt_f64_f32_e32 v[2:3], v9
	v_mul_f64 v[2:3], v[2:3], s[6:7]
	v_and_or_b32 v2, v3, s10, v2
	v_cmp_ne_u32_e32 vcc, 0, v2
	v_lshrrev_b32_e32 v9, 8, v3
	v_bfe_u32 v13, v3, 20, 11
	v_cndmask_b32_e64 v2, 0, 1, vcc
	v_and_or_b32 v2, v9, s14, v2
	v_sub_u32_e32 v18, 0x3f1, v13
	v_or_b32_e32 v9, 0x1000, v2
	v_med3_i32 v18, v18, 0, 13
	v_lshrrev_b32_e32 v20, v18, v9
	v_lshlrev_b32_e32 v18, v18, v20
	v_cmp_ne_u32_e32 vcc, v18, v9
	v_add_u32_e32 v13, 0xfffffc10, v13
	v_lshl_or_b32 v18, v13, 12, v2
	v_cndmask_b32_e64 v9, 0, 1, vcc
	v_or_b32_e32 v9, v20, v9
	v_cmp_gt_i32_e32 vcc, 1, v13
	v_lshrrev_b32_e32 v3, 16, v3
	s_nop 0
	v_cndmask_b32_e32 v9, v18, v9, vcc
	v_and_b32_e32 v18, 7, v9
	v_cmp_lt_i32_e32 vcc, 5, v18
	v_cmp_eq_u32_e64 s[0:1], 3, v18
	v_lshrrev_b32_e32 v9, 2, v9
	s_or_b64 vcc, s[0:1], vcc
	v_addc_co_u32_e32 v9, vcc, 0, v9, vcc
	v_cmp_gt_i32_e32 vcc, 31, v13
	s_nop 1
	v_cndmask_b32_e32 v9, v8, v9, vcc
	v_cmp_ne_u32_e32 vcc, 0, v2
	s_nop 1
	v_cndmask_b32_e64 v2, 0, 1, vcc
	v_lshl_or_b32 v2, v2, 9, v8
	v_cmp_eq_u32_e32 vcc, s15, v13
	s_nop 1
	v_cndmask_b32_e32 v2, v9, v2, vcc
	v_and_or_b32 v2, v3, s16, v2
	v_bitop3_b32 v3, v12, s2, v6 bitop3:0xc8
	v_lshrrev_b32_e32 v6, 16, v23
	s_waitcnt vmcnt(6)
	v_mul_f16_sdwa v9, v6, v10 dst_sel:DWORD dst_unused:UNUSED_PAD src0_sel:DWORD src1_sel:WORD_1
	v_fma_f16 v9, v23, v10, v9
	v_cvt_f32_f16_e32 v9, v9
	v_lshl_or_b32 v3, v2, 16, v3
	v_mov_b32_e32 v2, 0x240
	v_mad_u64_u32 v[4:5], s[0:1], s8, v2, v[4:5]
	v_cvt_f64_f32_e32 v[12:13], v9
	v_add_u32_e32 v5, s3, v5
	v_mul_f64 v[12:13], v[12:13], s[6:7]
	global_store_dword v[4:5], v3, off
	v_and_or_b32 v3, v13, s10, v12
	v_cmp_ne_u32_e32 vcc, 0, v3
	v_lshrrev_b32_e32 v9, 8, v13
	v_bfe_u32 v12, v13, 20, 11
	v_cndmask_b32_e64 v3, 0, 1, vcc
	v_and_or_b32 v3, v9, s14, v3
	v_sub_u32_e32 v18, 0x3f1, v12
	v_or_b32_e32 v9, 0x1000, v3
	v_med3_i32 v18, v18, 0, 13
	v_lshrrev_b32_e32 v20, v18, v9
	v_lshlrev_b32_e32 v18, v18, v20
	v_cmp_ne_u32_e32 vcc, v18, v9
	v_add_u32_e32 v12, 0xfffffc10, v12
	v_lshl_or_b32 v18, v12, 12, v3
	v_cndmask_b32_e64 v9, 0, 1, vcc
	v_or_b32_e32 v9, v20, v9
	v_cmp_gt_i32_e32 vcc, 1, v12
	s_nop 1
	v_cndmask_b32_e32 v9, v18, v9, vcc
	v_and_b32_e32 v18, 7, v9
	v_cmp_lt_i32_e32 vcc, 5, v18
	v_cmp_eq_u32_e64 s[0:1], 3, v18
	v_lshrrev_b32_e32 v9, 2, v9
	s_or_b64 vcc, s[0:1], vcc
	v_mul_f16_sdwa v18, v23, v10 dst_sel:DWORD dst_unused:UNUSED_PAD src0_sel:DWORD src1_sel:WORD_1
	v_addc_co_u32_e32 v9, vcc, 0, v9, vcc
	v_fma_f16 v6, v10, v6, -v18
	v_cmp_gt_i32_e32 vcc, 31, v12
	v_cvt_f32_f16_e32 v6, v6
	s_nop 0
	v_cndmask_b32_e32 v9, v8, v9, vcc
	v_cmp_ne_u32_e32 vcc, 0, v3
	s_nop 1
	v_cndmask_b32_e64 v3, 0, 1, vcc
	v_lshl_or_b32 v3, v3, 9, v8
	v_cmp_eq_u32_e32 vcc, s15, v12
	s_nop 1
	v_cndmask_b32_e32 v3, v9, v3, vcc
	v_and_b32_sdwa v9, v13, s16 dst_sel:DWORD dst_unused:UNUSED_PAD src0_sel:WORD_1 src1_sel:DWORD
	v_cvt_f64_f32_e32 v[12:13], v6
	v_mul_f64 v[12:13], v[12:13], s[6:7]
	v_and_or_b32 v6, v13, s10, v12
	v_cmp_ne_u32_e32 vcc, 0, v6
	v_lshrrev_b32_e32 v10, 8, v13
	v_bfe_u32 v12, v13, 20, 11
	v_cndmask_b32_e64 v6, 0, 1, vcc
	v_and_or_b32 v6, v10, s14, v6
	v_sub_u32_e32 v18, 0x3f1, v12
	v_or_b32_e32 v10, 0x1000, v6
	v_med3_i32 v18, v18, 0, 13
	v_lshrrev_b32_e32 v20, v18, v10
	v_lshlrev_b32_e32 v18, v18, v20
	v_cmp_ne_u32_e32 vcc, v18, v10
	v_add_u32_e32 v12, 0xfffffc10, v12
	v_lshl_or_b32 v18, v12, 12, v6
	v_cndmask_b32_e64 v10, 0, 1, vcc
	v_or_b32_e32 v10, v20, v10
	v_cmp_gt_i32_e32 vcc, 1, v12
	v_bitop3_b32 v3, v9, s2, v3 bitop3:0xc8
	s_nop 0
	v_cndmask_b32_e32 v10, v18, v10, vcc
	v_and_b32_e32 v18, 7, v10
	v_cmp_lt_i32_e32 vcc, 5, v18
	v_cmp_eq_u32_e64 s[0:1], 3, v18
	v_lshrrev_b32_e32 v10, 2, v10
	s_or_b64 vcc, s[0:1], vcc
	v_addc_co_u32_e32 v10, vcc, 0, v10, vcc
	v_cmp_gt_i32_e32 vcc, 31, v12
	v_mad_u64_u32 v[4:5], s[0:1], s8, v2, v[4:5]
	s_nop 0
	v_cndmask_b32_e32 v10, v8, v10, vcc
	v_cmp_ne_u32_e32 vcc, 0, v6
	v_add_u32_e32 v5, s3, v5
	s_nop 0
	v_cndmask_b32_e64 v6, 0, 1, vcc
	v_lshl_or_b32 v6, v6, 9, v8
	v_cmp_eq_u32_e32 vcc, s15, v12
	s_nop 1
	v_cndmask_b32_e32 v6, v10, v6, vcc
	v_add_u32_e32 v10, 0x600, v7
	ds_read2_b32 v[20:21], v10 offset0:48 offset1:192
	v_lshrrev_b32_e32 v10, 16, v13
	v_and_or_b32 v6, v10, s16, v6
	v_lshl_or_b32 v3, v6, 16, v3
	global_store_dword v[4:5], v3, off
	global_load_dword v3, v16, s[12:13] offset:2304
	s_waitcnt lgkmcnt(0)
	v_lshrrev_b32_e32 v6, 16, v20
	s_waitcnt vmcnt(8)
	v_mul_f16_sdwa v9, v6, v11 dst_sel:DWORD dst_unused:UNUSED_PAD src0_sel:DWORD src1_sel:WORD_1
	v_fma_f16 v9, v20, v11, v9
	v_cvt_f32_f16_e32 v9, v9
	v_cvt_f64_f32_e32 v[12:13], v9
	v_mul_f64 v[12:13], v[12:13], s[6:7]
	v_and_or_b32 v9, v13, s10, v12
	v_cmp_ne_u32_e32 vcc, 0, v9
	v_lshrrev_b32_e32 v10, 8, v13
	v_bfe_u32 v12, v13, 20, 11
	v_cndmask_b32_e64 v9, 0, 1, vcc
	v_and_or_b32 v9, v10, s14, v9
	v_sub_u32_e32 v18, 0x3f1, v12
	v_or_b32_e32 v10, 0x1000, v9
	v_med3_i32 v18, v18, 0, 13
	v_lshrrev_b32_e32 v22, v18, v10
	v_lshlrev_b32_e32 v18, v18, v22
	v_cmp_ne_u32_e32 vcc, v18, v10
	v_add_u32_e32 v12, 0xfffffc10, v12
	v_lshl_or_b32 v18, v12, 12, v9
	v_cndmask_b32_e64 v10, 0, 1, vcc
	v_or_b32_e32 v10, v22, v10
	v_cmp_gt_i32_e32 vcc, 1, v12
	s_nop 1
	v_cndmask_b32_e32 v10, v18, v10, vcc
	v_and_b32_e32 v18, 7, v10
	v_cmp_lt_i32_e32 vcc, 5, v18
	v_cmp_eq_u32_e64 s[0:1], 3, v18
	v_lshrrev_b32_e32 v10, 2, v10
	s_or_b64 vcc, s[0:1], vcc
	v_mul_f16_sdwa v18, v20, v11 dst_sel:DWORD dst_unused:UNUSED_PAD src0_sel:DWORD src1_sel:WORD_1
	v_addc_co_u32_e32 v10, vcc, 0, v10, vcc
	v_fma_f16 v6, v11, v6, -v18
	v_cmp_gt_i32_e32 vcc, 31, v12
	v_cvt_f32_f16_e32 v6, v6
	s_nop 0
	v_cndmask_b32_e32 v10, v8, v10, vcc
	v_cmp_ne_u32_e32 vcc, 0, v9
	s_nop 1
	v_cndmask_b32_e64 v9, 0, 1, vcc
	v_lshl_or_b32 v9, v9, 9, v8
	v_cmp_eq_u32_e32 vcc, s15, v12
	v_and_b32_sdwa v12, v13, s16 dst_sel:DWORD dst_unused:UNUSED_PAD src0_sel:WORD_1 src1_sel:DWORD
	s_nop 0
	v_cndmask_b32_e32 v9, v10, v9, vcc
	v_cvt_f64_f32_e32 v[10:11], v6
	v_mul_f64 v[10:11], v[10:11], s[6:7]
	v_and_or_b32 v6, v11, s10, v10
	v_cmp_ne_u32_e32 vcc, 0, v6
	v_lshrrev_b32_e32 v10, 8, v11
	v_bfe_u32 v13, v11, 20, 11
	v_cndmask_b32_e64 v6, 0, 1, vcc
	v_and_or_b32 v6, v10, s14, v6
	v_sub_u32_e32 v18, 0x3f1, v13
	v_or_b32_e32 v10, 0x1000, v6
	v_med3_i32 v18, v18, 0, 13
	v_lshrrev_b32_e32 v20, v18, v10
	v_lshlrev_b32_e32 v18, v18, v20
	v_cmp_ne_u32_e32 vcc, v18, v10
	v_add_u32_e32 v13, 0xfffffc10, v13
	v_lshl_or_b32 v18, v13, 12, v6
	v_cndmask_b32_e64 v10, 0, 1, vcc
	v_or_b32_e32 v10, v20, v10
	v_cmp_gt_i32_e32 vcc, 1, v13
	v_bitop3_b32 v9, v12, s2, v9 bitop3:0xc8
	s_nop 0
	v_cndmask_b32_e32 v10, v18, v10, vcc
	v_and_b32_e32 v18, 7, v10
	v_cmp_lt_i32_e32 vcc, 5, v18
	v_cmp_eq_u32_e64 s[0:1], 3, v18
	global_load_dword v18, v16, s[12:13] offset:2880
	global_load_dword v20, v16, s[12:13] offset:3456
	;; [unrolled: 1-line block ×3, first 2 shown]
	v_lshrrev_b32_e32 v10, 2, v10
	s_or_b64 vcc, s[0:1], vcc
	v_addc_co_u32_e32 v10, vcc, 0, v10, vcc
	v_cmp_gt_i32_e32 vcc, 31, v13
	v_mad_u64_u32 v[4:5], s[0:1], s8, v2, v[4:5]
	s_nop 0
	v_cndmask_b32_e32 v10, v8, v10, vcc
	v_cmp_ne_u32_e32 vcc, 0, v6
	v_add_u32_e32 v5, s3, v5
	s_nop 0
	v_cndmask_b32_e64 v6, 0, 1, vcc
	v_lshl_or_b32 v6, v6, 9, v8
	v_cmp_eq_u32_e32 vcc, s15, v13
	s_nop 1
	v_cndmask_b32_e32 v6, v10, v6, vcc
	v_lshrrev_b32_e32 v10, 16, v11
	v_and_or_b32 v6, v10, s16, v6
	v_lshl_or_b32 v6, v6, 16, v9
	v_lshrrev_b32_e32 v9, 16, v21
	s_waitcnt vmcnt(3)
	v_mul_f16_sdwa v10, v9, v3 dst_sel:DWORD dst_unused:UNUSED_PAD src0_sel:DWORD src1_sel:WORD_1
	v_fma_f16 v10, v21, v3, v10
	v_cvt_f32_f16_e32 v10, v10
	global_store_dword v[4:5], v6, off
	v_cvt_f64_f32_e32 v[10:11], v10
	v_mul_f64 v[10:11], v[10:11], s[6:7]
	v_and_or_b32 v6, v11, s10, v10
	v_cmp_ne_u32_e32 vcc, 0, v6
	v_lshrrev_b32_e32 v10, 8, v11
	v_bfe_u32 v12, v11, 20, 11
	v_cndmask_b32_e64 v6, 0, 1, vcc
	v_and_or_b32 v6, v10, s14, v6
	v_sub_u32_e32 v13, 0x3f1, v12
	v_or_b32_e32 v10, 0x1000, v6
	v_med3_i32 v13, v13, 0, 13
	v_lshrrev_b32_e32 v16, v13, v10
	v_lshlrev_b32_e32 v13, v13, v16
	v_cmp_ne_u32_e32 vcc, v13, v10
	v_add_u32_e32 v12, 0xfffffc10, v12
	v_lshl_or_b32 v13, v12, 12, v6
	v_cndmask_b32_e64 v10, 0, 1, vcc
	v_or_b32_e32 v10, v16, v10
	v_cmp_gt_i32_e32 vcc, 1, v12
	s_nop 1
	v_cndmask_b32_e32 v10, v13, v10, vcc
	v_and_b32_e32 v13, 7, v10
	v_cmp_lt_i32_e32 vcc, 5, v13
	v_cmp_eq_u32_e64 s[0:1], 3, v13
	v_lshrrev_b32_e32 v10, 2, v10
	s_or_b64 vcc, s[0:1], vcc
	v_mul_f16_sdwa v13, v21, v3 dst_sel:DWORD dst_unused:UNUSED_PAD src0_sel:DWORD src1_sel:WORD_1
	v_addc_co_u32_e32 v10, vcc, 0, v10, vcc
	v_fma_f16 v3, v3, v9, -v13
	v_cmp_gt_i32_e32 vcc, 31, v12
	v_cvt_f32_f16_e32 v3, v3
	v_and_b32_sdwa v9, v11, s16 dst_sel:DWORD dst_unused:UNUSED_PAD src0_sel:WORD_1 src1_sel:DWORD
	v_cndmask_b32_e32 v10, v8, v10, vcc
	v_cmp_ne_u32_e32 vcc, 0, v6
	s_nop 1
	v_cndmask_b32_e64 v6, 0, 1, vcc
	v_lshl_or_b32 v6, v6, 9, v8
	v_cmp_eq_u32_e32 vcc, s15, v12
	s_nop 1
	v_cndmask_b32_e32 v6, v10, v6, vcc
	v_cvt_f64_f32_e32 v[10:11], v3
	v_mul_f64 v[10:11], v[10:11], s[6:7]
	v_and_or_b32 v3, v11, s10, v10
	v_cmp_ne_u32_e32 vcc, 0, v3
	v_lshrrev_b32_e32 v10, 8, v11
	v_bfe_u32 v12, v11, 20, 11
	v_cndmask_b32_e64 v3, 0, 1, vcc
	v_and_or_b32 v3, v10, s14, v3
	v_sub_u32_e32 v13, 0x3f1, v12
	v_or_b32_e32 v10, 0x1000, v3
	v_med3_i32 v13, v13, 0, 13
	v_lshrrev_b32_e32 v16, v13, v10
	v_lshlrev_b32_e32 v13, v13, v16
	v_cmp_ne_u32_e32 vcc, v13, v10
	v_add_u32_e32 v12, 0xfffffc10, v12
	v_lshl_or_b32 v13, v12, 12, v3
	v_cndmask_b32_e64 v10, 0, 1, vcc
	v_or_b32_e32 v10, v16, v10
	v_cmp_gt_i32_e32 vcc, 1, v12
	v_bitop3_b32 v6, v9, s2, v6 bitop3:0xc8
	s_nop 0
	v_cndmask_b32_e32 v10, v13, v10, vcc
	v_and_b32_e32 v13, 7, v10
	v_cmp_lt_i32_e32 vcc, 5, v13
	v_cmp_eq_u32_e64 s[0:1], 3, v13
	v_lshrrev_b32_e32 v10, 2, v10
	s_or_b64 vcc, s[0:1], vcc
	v_addc_co_u32_e32 v10, vcc, 0, v10, vcc
	v_cmp_gt_i32_e32 vcc, 31, v12
	v_mad_u64_u32 v[4:5], s[0:1], s8, v2, v[4:5]
	s_nop 0
	v_cndmask_b32_e32 v10, v8, v10, vcc
	v_cmp_ne_u32_e32 vcc, 0, v3
	v_add_u32_e32 v5, s3, v5
	s_nop 0
	v_cndmask_b32_e64 v3, 0, 1, vcc
	v_lshl_or_b32 v3, v3, 9, v8
	v_cmp_eq_u32_e32 vcc, s15, v12
	s_nop 1
	v_cndmask_b32_e32 v3, v10, v3, vcc
	v_add_u32_e32 v10, 0xa00, v7
	ds_read2_b32 v[12:13], v10 offset0:80 offset1:224
	v_lshrrev_b32_e32 v10, 16, v11
	v_and_or_b32 v3, v10, s16, v3
	v_lshl_or_b32 v3, v3, 16, v6
	global_store_dword v[4:5], v3, off
	s_waitcnt lgkmcnt(0)
	v_lshrrev_b32_e32 v6, 16, v12
	s_waitcnt vmcnt(4)
	v_mul_f16_sdwa v9, v6, v18 dst_sel:DWORD dst_unused:UNUSED_PAD src0_sel:DWORD src1_sel:WORD_1
	v_fma_f16 v9, v12, v18, v9
	v_cvt_f32_f16_e32 v9, v9
	v_mul_f16_sdwa v12, v12, v18 dst_sel:DWORD dst_unused:UNUSED_PAD src0_sel:DWORD src1_sel:WORD_1
	v_fma_f16 v6, v18, v6, -v12
	v_cvt_f32_f16_e32 v6, v6
	v_cvt_f64_f32_e32 v[10:11], v9
	v_mul_f64 v[10:11], v[10:11], s[6:7]
	v_and_or_b32 v3, v11, s10, v10
	v_cmp_ne_u32_e32 vcc, 0, v3
	v_lshrrev_b32_e32 v9, 8, v11
	v_bfe_u32 v10, v11, 20, 11
	v_cndmask_b32_e64 v3, 0, 1, vcc
	v_and_or_b32 v3, v9, s14, v3
	v_sub_u32_e32 v16, 0x3f1, v10
	v_or_b32_e32 v9, 0x1000, v3
	v_med3_i32 v16, v16, 0, 13
	v_lshrrev_b32_e32 v21, v16, v9
	v_lshlrev_b32_e32 v16, v16, v21
	v_cmp_ne_u32_e32 vcc, v16, v9
	v_add_u32_e32 v10, 0xfffffc10, v10
	v_lshl_or_b32 v16, v10, 12, v3
	v_cndmask_b32_e64 v9, 0, 1, vcc
	v_or_b32_e32 v9, v21, v9
	v_cmp_gt_i32_e32 vcc, 1, v10
	s_nop 1
	v_cndmask_b32_e32 v9, v16, v9, vcc
	v_and_b32_e32 v16, 7, v9
	v_cmp_lt_i32_e32 vcc, 5, v16
	v_cmp_eq_u32_e64 s[0:1], 3, v16
	v_lshrrev_b32_e32 v9, 2, v9
	s_or_b64 vcc, s[0:1], vcc
	v_addc_co_u32_e32 v9, vcc, 0, v9, vcc
	v_cmp_gt_i32_e32 vcc, 31, v10
	s_nop 1
	v_cndmask_b32_e32 v9, v8, v9, vcc
	v_cmp_ne_u32_e32 vcc, 0, v3
	s_nop 1
	v_cndmask_b32_e64 v3, 0, 1, vcc
	v_lshl_or_b32 v3, v3, 9, v8
	v_cmp_eq_u32_e32 vcc, s15, v10
	s_nop 1
	v_cndmask_b32_e32 v3, v9, v3, vcc
	v_and_b32_sdwa v9, v11, s16 dst_sel:DWORD dst_unused:UNUSED_PAD src0_sel:WORD_1 src1_sel:DWORD
	v_cvt_f64_f32_e32 v[10:11], v6
	v_mul_f64 v[10:11], v[10:11], s[6:7]
	v_and_or_b32 v6, v11, s10, v10
	v_cmp_ne_u32_e32 vcc, 0, v6
	v_lshrrev_b32_e32 v10, 8, v11
	v_bfe_u32 v12, v11, 20, 11
	v_cndmask_b32_e64 v6, 0, 1, vcc
	v_and_or_b32 v6, v10, s14, v6
	v_sub_u32_e32 v16, 0x3f1, v12
	v_or_b32_e32 v10, 0x1000, v6
	v_med3_i32 v16, v16, 0, 13
	v_lshrrev_b32_e32 v18, v16, v10
	v_lshlrev_b32_e32 v16, v16, v18
	v_cmp_ne_u32_e32 vcc, v16, v10
	v_add_u32_e32 v12, 0xfffffc10, v12
	v_lshl_or_b32 v16, v12, 12, v6
	v_cndmask_b32_e64 v10, 0, 1, vcc
	v_or_b32_e32 v10, v18, v10
	v_cmp_gt_i32_e32 vcc, 1, v12
	v_bitop3_b32 v3, v9, s2, v3 bitop3:0xc8
	s_nop 0
	v_cndmask_b32_e32 v10, v16, v10, vcc
	v_and_b32_e32 v16, 7, v10
	v_cmp_lt_i32_e32 vcc, 5, v16
	v_cmp_eq_u32_e64 s[0:1], 3, v16
	v_lshrrev_b32_e32 v10, 2, v10
	s_or_b64 vcc, s[0:1], vcc
	v_addc_co_u32_e32 v10, vcc, 0, v10, vcc
	v_cmp_gt_i32_e32 vcc, 31, v12
	v_mad_u64_u32 v[4:5], s[0:1], s8, v2, v[4:5]
	s_nop 0
	v_cndmask_b32_e32 v10, v8, v10, vcc
	v_cmp_ne_u32_e32 vcc, 0, v6
	v_add_u32_e32 v5, s3, v5
	s_nop 0
	v_cndmask_b32_e64 v6, 0, 1, vcc
	v_lshl_or_b32 v6, v6, 9, v8
	v_cmp_eq_u32_e32 vcc, s15, v12
	s_nop 1
	v_cndmask_b32_e32 v6, v10, v6, vcc
	v_lshrrev_b32_e32 v10, 16, v11
	v_and_or_b32 v6, v10, s16, v6
	v_lshl_or_b32 v3, v6, 16, v3
	v_lshrrev_b32_e32 v6, 16, v13
	s_waitcnt vmcnt(3)
	v_mul_f16_sdwa v9, v6, v20 dst_sel:DWORD dst_unused:UNUSED_PAD src0_sel:DWORD src1_sel:WORD_1
	v_fma_f16 v9, v13, v20, v9
	v_cvt_f32_f16_e32 v9, v9
	global_store_dword v[4:5], v3, off
	v_cvt_f64_f32_e32 v[10:11], v9
	v_mul_f64 v[10:11], v[10:11], s[6:7]
	v_and_or_b32 v3, v11, s10, v10
	v_cmp_ne_u32_e32 vcc, 0, v3
	v_lshrrev_b32_e32 v9, 8, v11
	v_bfe_u32 v10, v11, 20, 11
	v_cndmask_b32_e64 v3, 0, 1, vcc
	v_and_or_b32 v3, v9, s14, v3
	v_sub_u32_e32 v12, 0x3f1, v10
	v_or_b32_e32 v9, 0x1000, v3
	v_med3_i32 v12, v12, 0, 13
	v_lshrrev_b32_e32 v16, v12, v9
	v_lshlrev_b32_e32 v12, v12, v16
	v_cmp_ne_u32_e32 vcc, v12, v9
	v_add_u32_e32 v10, 0xfffffc10, v10
	v_lshl_or_b32 v12, v10, 12, v3
	v_cndmask_b32_e64 v9, 0, 1, vcc
	v_or_b32_e32 v9, v16, v9
	v_cmp_gt_i32_e32 vcc, 1, v10
	s_nop 1
	v_cndmask_b32_e32 v9, v12, v9, vcc
	v_and_b32_e32 v12, 7, v9
	v_cmp_lt_i32_e32 vcc, 5, v12
	v_cmp_eq_u32_e64 s[0:1], 3, v12
	v_lshrrev_b32_e32 v9, 2, v9
	s_or_b64 vcc, s[0:1], vcc
	v_mul_f16_sdwa v12, v13, v20 dst_sel:DWORD dst_unused:UNUSED_PAD src0_sel:DWORD src1_sel:WORD_1
	v_addc_co_u32_e32 v9, vcc, 0, v9, vcc
	v_fma_f16 v6, v20, v6, -v12
	v_cmp_gt_i32_e32 vcc, 31, v10
	v_cvt_f32_f16_e32 v6, v6
	s_nop 0
	v_cndmask_b32_e32 v9, v8, v9, vcc
	v_cmp_ne_u32_e32 vcc, 0, v3
	s_nop 1
	v_cndmask_b32_e64 v3, 0, 1, vcc
	v_lshl_or_b32 v3, v3, 9, v8
	v_cmp_eq_u32_e32 vcc, s15, v10
	s_nop 1
	v_cndmask_b32_e32 v3, v9, v3, vcc
	v_and_b32_sdwa v9, v11, s16 dst_sel:DWORD dst_unused:UNUSED_PAD src0_sel:WORD_1 src1_sel:DWORD
	v_cvt_f64_f32_e32 v[10:11], v6
	v_mul_f64 v[10:11], v[10:11], s[6:7]
	v_and_or_b32 v6, v11, s10, v10
	v_cmp_ne_u32_e32 vcc, 0, v6
	v_lshrrev_b32_e32 v10, 8, v11
	v_bfe_u32 v12, v11, 20, 11
	v_cndmask_b32_e64 v6, 0, 1, vcc
	v_and_or_b32 v6, v10, s14, v6
	v_sub_u32_e32 v13, 0x3f1, v12
	v_or_b32_e32 v10, 0x1000, v6
	v_med3_i32 v13, v13, 0, 13
	v_lshrrev_b32_e32 v16, v13, v10
	v_lshlrev_b32_e32 v13, v13, v16
	v_cmp_ne_u32_e32 vcc, v13, v10
	v_add_u32_e32 v12, 0xfffffc10, v12
	v_lshl_or_b32 v13, v12, 12, v6
	v_cndmask_b32_e64 v10, 0, 1, vcc
	v_or_b32_e32 v10, v16, v10
	v_cmp_gt_i32_e32 vcc, 1, v12
	v_bitop3_b32 v3, v9, s2, v3 bitop3:0xc8
	s_nop 0
	v_cndmask_b32_e32 v10, v13, v10, vcc
	v_and_b32_e32 v13, 7, v10
	v_cmp_lt_i32_e32 vcc, 5, v13
	v_cmp_eq_u32_e64 s[0:1], 3, v13
	v_lshrrev_b32_e32 v10, 2, v10
	s_or_b64 vcc, s[0:1], vcc
	v_addc_co_u32_e32 v10, vcc, 0, v10, vcc
	v_cmp_gt_i32_e32 vcc, 31, v12
	v_mad_u64_u32 v[4:5], s[0:1], s8, v2, v[4:5]
	s_nop 0
	v_cndmask_b32_e32 v10, v8, v10, vcc
	v_cmp_ne_u32_e32 vcc, 0, v6
	v_add_u32_e32 v5, s3, v5
	s_nop 0
	v_cndmask_b32_e64 v6, 0, 1, vcc
	v_lshl_or_b32 v6, v6, 9, v8
	v_cmp_eq_u32_e32 vcc, s15, v12
	s_nop 1
	v_cndmask_b32_e32 v6, v10, v6, vcc
	v_add_u32_e32 v10, 0xf00, v7
	ds_read2_b32 v[12:13], v10 offset0:48 offset1:192
	v_lshrrev_b32_e32 v10, 16, v11
	v_and_or_b32 v6, v10, s16, v6
	v_lshl_or_b32 v3, v6, 16, v3
	global_store_dword v[4:5], v3, off
	s_waitcnt lgkmcnt(0)
	v_lshrrev_b32_e32 v6, 16, v12
	s_waitcnt vmcnt(4)
	v_mul_f16_sdwa v9, v6, v22 dst_sel:DWORD dst_unused:UNUSED_PAD src0_sel:DWORD src1_sel:WORD_1
	v_fma_f16 v9, v12, v22, v9
	v_cvt_f32_f16_e32 v9, v9
	v_mul_f16_sdwa v12, v12, v22 dst_sel:DWORD dst_unused:UNUSED_PAD src0_sel:DWORD src1_sel:WORD_1
	v_fma_f16 v6, v22, v6, -v12
	v_cvt_f32_f16_e32 v6, v6
	v_cvt_f64_f32_e32 v[10:11], v9
	v_mul_f64 v[10:11], v[10:11], s[6:7]
	v_and_or_b32 v3, v11, s10, v10
	v_cmp_ne_u32_e32 vcc, 0, v3
	v_lshrrev_b32_e32 v9, 8, v11
	v_bfe_u32 v10, v11, 20, 11
	v_cndmask_b32_e64 v3, 0, 1, vcc
	v_and_or_b32 v3, v9, s14, v3
	v_sub_u32_e32 v16, 0x3f1, v10
	v_or_b32_e32 v9, 0x1000, v3
	v_med3_i32 v16, v16, 0, 13
	v_lshrrev_b32_e32 v18, v16, v9
	v_lshlrev_b32_e32 v16, v16, v18
	v_cmp_ne_u32_e32 vcc, v16, v9
	v_add_u32_e32 v10, 0xfffffc10, v10
	v_lshl_or_b32 v16, v10, 12, v3
	v_cndmask_b32_e64 v9, 0, 1, vcc
	v_or_b32_e32 v9, v18, v9
	v_cmp_gt_i32_e32 vcc, 1, v10
	s_nop 1
	v_cndmask_b32_e32 v9, v16, v9, vcc
	v_and_b32_e32 v16, 7, v9
	v_cmp_lt_i32_e32 vcc, 5, v16
	v_cmp_eq_u32_e64 s[0:1], 3, v16
	v_lshrrev_b32_e32 v9, 2, v9
	s_or_b64 vcc, s[0:1], vcc
	v_addc_co_u32_e32 v9, vcc, 0, v9, vcc
	v_cmp_gt_i32_e32 vcc, 31, v10
	s_nop 1
	v_cndmask_b32_e32 v9, v8, v9, vcc
	v_cmp_ne_u32_e32 vcc, 0, v3
	s_nop 1
	v_cndmask_b32_e64 v3, 0, 1, vcc
	v_lshl_or_b32 v3, v3, 9, v8
	v_cmp_eq_u32_e32 vcc, s15, v10
	s_nop 1
	v_cndmask_b32_e32 v3, v9, v3, vcc
	v_and_b32_sdwa v9, v11, s16 dst_sel:DWORD dst_unused:UNUSED_PAD src0_sel:WORD_1 src1_sel:DWORD
	v_cvt_f64_f32_e32 v[10:11], v6
	v_mul_f64 v[10:11], v[10:11], s[6:7]
	v_and_or_b32 v6, v11, s10, v10
	v_cmp_ne_u32_e32 vcc, 0, v6
	v_lshrrev_b32_e32 v10, 8, v11
	v_bfe_u32 v12, v11, 20, 11
	v_cndmask_b32_e64 v6, 0, 1, vcc
	v_and_or_b32 v6, v10, s14, v6
	v_sub_u32_e32 v16, 0x3f1, v12
	v_or_b32_e32 v10, 0x1000, v6
	v_med3_i32 v16, v16, 0, 13
	v_lshrrev_b32_e32 v18, v16, v10
	v_lshlrev_b32_e32 v16, v16, v18
	v_cmp_ne_u32_e32 vcc, v16, v10
	v_add_u32_e32 v12, 0xfffffc10, v12
	v_lshl_or_b32 v16, v12, 12, v6
	v_cndmask_b32_e64 v10, 0, 1, vcc
	v_or_b32_e32 v10, v18, v10
	v_cmp_gt_i32_e32 vcc, 1, v12
	v_bitop3_b32 v3, v9, s2, v3 bitop3:0xc8
	s_nop 0
	v_cndmask_b32_e32 v10, v16, v10, vcc
	v_and_b32_e32 v16, 7, v10
	v_cmp_lt_i32_e32 vcc, 5, v16
	v_cmp_eq_u32_e64 s[0:1], 3, v16
	v_lshrrev_b32_e32 v10, 2, v10
	s_or_b64 vcc, s[0:1], vcc
	v_addc_co_u32_e32 v10, vcc, 0, v10, vcc
	v_cmp_gt_i32_e32 vcc, 31, v12
	v_mad_u64_u32 v[4:5], s[0:1], s8, v2, v[4:5]
	s_nop 0
	v_cndmask_b32_e32 v10, v8, v10, vcc
	v_cmp_ne_u32_e32 vcc, 0, v6
	v_add_u32_e32 v5, s3, v5
	s_nop 0
	v_cndmask_b32_e64 v6, 0, 1, vcc
	v_lshl_or_b32 v6, v6, 9, v8
	v_cmp_eq_u32_e32 vcc, s15, v12
	s_nop 1
	v_cndmask_b32_e32 v6, v10, v6, vcc
	v_lshrrev_b32_e32 v10, 16, v11
	v_and_or_b32 v6, v10, s16, v6
	v_lshl_or_b32 v3, v6, 16, v3
	v_lshrrev_b32_e32 v6, 16, v13
	v_mul_f16_sdwa v9, v6, v14 dst_sel:DWORD dst_unused:UNUSED_PAD src0_sel:DWORD src1_sel:WORD_1
	v_fma_f16 v9, v13, v14, v9
	v_cvt_f32_f16_e32 v9, v9
	global_store_dword v[4:5], v3, off
	v_cvt_f64_f32_e32 v[10:11], v9
	v_mul_f64 v[10:11], v[10:11], s[6:7]
	v_and_or_b32 v3, v11, s10, v10
	v_cmp_ne_u32_e32 vcc, 0, v3
	v_lshrrev_b32_e32 v9, 8, v11
	v_bfe_u32 v10, v11, 20, 11
	v_cndmask_b32_e64 v3, 0, 1, vcc
	v_and_or_b32 v3, v9, s14, v3
	v_sub_u32_e32 v12, 0x3f1, v10
	v_or_b32_e32 v9, 0x1000, v3
	v_med3_i32 v12, v12, 0, 13
	v_lshrrev_b32_e32 v16, v12, v9
	v_lshlrev_b32_e32 v12, v12, v16
	v_cmp_ne_u32_e32 vcc, v12, v9
	v_add_u32_e32 v10, 0xfffffc10, v10
	v_lshl_or_b32 v12, v10, 12, v3
	v_cndmask_b32_e64 v9, 0, 1, vcc
	v_or_b32_e32 v9, v16, v9
	v_cmp_gt_i32_e32 vcc, 1, v10
	s_nop 1
	v_cndmask_b32_e32 v9, v12, v9, vcc
	v_and_b32_e32 v12, 7, v9
	v_cmp_lt_i32_e32 vcc, 5, v12
	v_cmp_eq_u32_e64 s[0:1], 3, v12
	v_lshrrev_b32_e32 v9, 2, v9
	s_or_b64 vcc, s[0:1], vcc
	v_mul_f16_sdwa v12, v13, v14 dst_sel:DWORD dst_unused:UNUSED_PAD src0_sel:DWORD src1_sel:WORD_1
	v_addc_co_u32_e32 v9, vcc, 0, v9, vcc
	v_fma_f16 v6, v14, v6, -v12
	v_cmp_gt_i32_e32 vcc, 31, v10
	v_cvt_f32_f16_e32 v6, v6
	s_nop 0
	v_cndmask_b32_e32 v9, v8, v9, vcc
	v_cmp_ne_u32_e32 vcc, 0, v3
	s_nop 1
	v_cndmask_b32_e64 v3, 0, 1, vcc
	v_lshl_or_b32 v3, v3, 9, v8
	v_cmp_eq_u32_e32 vcc, s15, v10
	s_nop 1
	v_cndmask_b32_e32 v3, v9, v3, vcc
	v_and_b32_sdwa v9, v11, s16 dst_sel:DWORD dst_unused:UNUSED_PAD src0_sel:WORD_1 src1_sel:DWORD
	v_cvt_f64_f32_e32 v[10:11], v6
	v_mul_f64 v[10:11], v[10:11], s[6:7]
	v_and_or_b32 v6, v11, s10, v10
	v_cmp_ne_u32_e32 vcc, 0, v6
	v_lshrrev_b32_e32 v10, 8, v11
	v_bfe_u32 v12, v11, 20, 11
	v_cndmask_b32_e64 v6, 0, 1, vcc
	v_and_or_b32 v6, v10, s14, v6
	v_sub_u32_e32 v13, 0x3f1, v12
	v_or_b32_e32 v10, 0x1000, v6
	v_med3_i32 v13, v13, 0, 13
	v_lshrrev_b32_e32 v14, v13, v10
	v_lshlrev_b32_e32 v13, v13, v14
	v_cmp_ne_u32_e32 vcc, v13, v10
	v_add_u32_e32 v12, 0xfffffc10, v12
	v_lshl_or_b32 v13, v12, 12, v6
	v_cndmask_b32_e64 v10, 0, 1, vcc
	v_or_b32_e32 v10, v14, v10
	v_cmp_gt_i32_e32 vcc, 1, v12
	v_bitop3_b32 v3, v9, s2, v3 bitop3:0xc8
	s_nop 0
	v_cndmask_b32_e32 v10, v13, v10, vcc
	v_and_b32_e32 v13, 7, v10
	v_cmp_lt_i32_e32 vcc, 5, v13
	v_cmp_eq_u32_e64 s[0:1], 3, v13
	v_lshrrev_b32_e32 v10, 2, v10
	s_or_b64 vcc, s[0:1], vcc
	v_addc_co_u32_e32 v10, vcc, 0, v10, vcc
	v_cmp_gt_i32_e32 vcc, 31, v12
	v_mad_u64_u32 v[4:5], s[0:1], s8, v2, v[4:5]
	s_nop 0
	v_cndmask_b32_e32 v10, v8, v10, vcc
	v_cmp_ne_u32_e32 vcc, 0, v6
	v_add_u32_e32 v5, s3, v5
	s_nop 0
	v_cndmask_b32_e64 v6, 0, 1, vcc
	v_lshl_or_b32 v6, v6, 9, v8
	v_cmp_eq_u32_e32 vcc, s15, v12
	s_nop 1
	v_cndmask_b32_e32 v6, v10, v6, vcc
	v_add_u32_e32 v10, 0x1400, v7
	ds_read2_b32 v[12:13], v10 offset0:16 offset1:160
	v_lshrrev_b32_e32 v10, 16, v11
	v_and_or_b32 v6, v10, s16, v6
	v_lshl_or_b32 v3, v6, 16, v3
	global_store_dword v[4:5], v3, off
	s_waitcnt lgkmcnt(0)
	v_lshrrev_b32_e32 v6, 16, v12
	v_mul_f16_sdwa v9, v6, v15 dst_sel:DWORD dst_unused:UNUSED_PAD src0_sel:DWORD src1_sel:WORD_1
	v_fma_f16 v9, v12, v15, v9
	v_cvt_f32_f16_e32 v9, v9
	v_mul_f16_sdwa v12, v12, v15 dst_sel:DWORD dst_unused:UNUSED_PAD src0_sel:DWORD src1_sel:WORD_1
	v_fma_f16 v6, v15, v6, -v12
	v_cvt_f32_f16_e32 v6, v6
	v_cvt_f64_f32_e32 v[10:11], v9
	v_mul_f64 v[10:11], v[10:11], s[6:7]
	v_and_or_b32 v3, v11, s10, v10
	v_cmp_ne_u32_e32 vcc, 0, v3
	v_lshrrev_b32_e32 v9, 8, v11
	v_bfe_u32 v10, v11, 20, 11
	v_cndmask_b32_e64 v3, 0, 1, vcc
	v_and_or_b32 v3, v9, s14, v3
	v_sub_u32_e32 v14, 0x3f1, v10
	v_or_b32_e32 v9, 0x1000, v3
	v_med3_i32 v14, v14, 0, 13
	v_lshrrev_b32_e32 v16, v14, v9
	v_lshlrev_b32_e32 v14, v14, v16
	v_cmp_ne_u32_e32 vcc, v14, v9
	v_add_u32_e32 v10, 0xfffffc10, v10
	v_lshl_or_b32 v14, v10, 12, v3
	v_cndmask_b32_e64 v9, 0, 1, vcc
	v_or_b32_e32 v9, v16, v9
	v_cmp_gt_i32_e32 vcc, 1, v10
	s_nop 1
	v_cndmask_b32_e32 v9, v14, v9, vcc
	v_and_b32_e32 v14, 7, v9
	v_cmp_lt_i32_e32 vcc, 5, v14
	v_cmp_eq_u32_e64 s[0:1], 3, v14
	v_lshrrev_b32_e32 v9, 2, v9
	s_or_b64 vcc, s[0:1], vcc
	v_addc_co_u32_e32 v9, vcc, 0, v9, vcc
	v_cmp_gt_i32_e32 vcc, 31, v10
	s_nop 1
	v_cndmask_b32_e32 v9, v8, v9, vcc
	v_cmp_ne_u32_e32 vcc, 0, v3
	s_nop 1
	v_cndmask_b32_e64 v3, 0, 1, vcc
	v_lshl_or_b32 v3, v3, 9, v8
	v_cmp_eq_u32_e32 vcc, s15, v10
	s_nop 1
	v_cndmask_b32_e32 v3, v9, v3, vcc
	v_and_b32_sdwa v9, v11, s16 dst_sel:DWORD dst_unused:UNUSED_PAD src0_sel:WORD_1 src1_sel:DWORD
	v_cvt_f64_f32_e32 v[10:11], v6
	v_mul_f64 v[10:11], v[10:11], s[6:7]
	v_and_or_b32 v6, v11, s10, v10
	v_cmp_ne_u32_e32 vcc, 0, v6
	v_lshrrev_b32_e32 v10, 8, v11
	v_bfe_u32 v12, v11, 20, 11
	v_cndmask_b32_e64 v6, 0, 1, vcc
	v_and_or_b32 v6, v10, s14, v6
	v_sub_u32_e32 v14, 0x3f1, v12
	v_or_b32_e32 v10, 0x1000, v6
	v_med3_i32 v14, v14, 0, 13
	v_lshrrev_b32_e32 v15, v14, v10
	v_lshlrev_b32_e32 v14, v14, v15
	v_cmp_ne_u32_e32 vcc, v14, v10
	v_add_u32_e32 v12, 0xfffffc10, v12
	v_lshl_or_b32 v14, v12, 12, v6
	v_cndmask_b32_e64 v10, 0, 1, vcc
	v_or_b32_e32 v10, v15, v10
	v_cmp_gt_i32_e32 vcc, 1, v12
	v_bitop3_b32 v3, v9, s2, v3 bitop3:0xc8
	s_nop 0
	v_cndmask_b32_e32 v10, v14, v10, vcc
	v_and_b32_e32 v14, 7, v10
	v_cmp_lt_i32_e32 vcc, 5, v14
	v_cmp_eq_u32_e64 s[0:1], 3, v14
	v_lshrrev_b32_e32 v10, 2, v10
	s_or_b64 vcc, s[0:1], vcc
	v_addc_co_u32_e32 v10, vcc, 0, v10, vcc
	v_cmp_gt_i32_e32 vcc, 31, v12
	v_mad_u64_u32 v[4:5], s[0:1], s8, v2, v[4:5]
	s_nop 0
	v_cndmask_b32_e32 v10, v8, v10, vcc
	v_cmp_ne_u32_e32 vcc, 0, v6
	v_add_u32_e32 v5, s3, v5
	s_nop 0
	v_cndmask_b32_e64 v6, 0, 1, vcc
	v_lshl_or_b32 v6, v6, 9, v8
	v_cmp_eq_u32_e32 vcc, s15, v12
	s_nop 1
	v_cndmask_b32_e32 v6, v10, v6, vcc
	v_lshrrev_b32_e32 v10, 16, v11
	v_and_or_b32 v6, v10, s16, v6
	v_lshl_or_b32 v3, v6, 16, v3
	v_lshrrev_b32_e32 v6, 16, v13
	v_mul_f16_sdwa v9, v6, v17 dst_sel:DWORD dst_unused:UNUSED_PAD src0_sel:DWORD src1_sel:WORD_1
	v_fma_f16 v9, v13, v17, v9
	v_cvt_f32_f16_e32 v9, v9
	global_store_dword v[4:5], v3, off
	v_cvt_f64_f32_e32 v[10:11], v9
	v_mul_f64 v[10:11], v[10:11], s[6:7]
	v_and_or_b32 v3, v11, s10, v10
	v_cmp_ne_u32_e32 vcc, 0, v3
	v_lshrrev_b32_e32 v9, 8, v11
	v_bfe_u32 v10, v11, 20, 11
	v_cndmask_b32_e64 v3, 0, 1, vcc
	v_and_or_b32 v3, v9, s14, v3
	v_sub_u32_e32 v12, 0x3f1, v10
	v_or_b32_e32 v9, 0x1000, v3
	v_med3_i32 v12, v12, 0, 13
	v_lshrrev_b32_e32 v14, v12, v9
	v_lshlrev_b32_e32 v12, v12, v14
	v_cmp_ne_u32_e32 vcc, v12, v9
	v_add_u32_e32 v10, 0xfffffc10, v10
	v_lshl_or_b32 v12, v10, 12, v3
	v_cndmask_b32_e64 v9, 0, 1, vcc
	v_or_b32_e32 v9, v14, v9
	v_cmp_gt_i32_e32 vcc, 1, v10
	s_nop 1
	v_cndmask_b32_e32 v9, v12, v9, vcc
	v_and_b32_e32 v12, 7, v9
	v_cmp_lt_i32_e32 vcc, 5, v12
	v_cmp_eq_u32_e64 s[0:1], 3, v12
	v_lshrrev_b32_e32 v9, 2, v9
	s_or_b64 vcc, s[0:1], vcc
	v_mul_f16_sdwa v12, v13, v17 dst_sel:DWORD dst_unused:UNUSED_PAD src0_sel:DWORD src1_sel:WORD_1
	v_addc_co_u32_e32 v9, vcc, 0, v9, vcc
	v_fma_f16 v6, v17, v6, -v12
	v_cmp_gt_i32_e32 vcc, 31, v10
	v_cvt_f32_f16_e32 v6, v6
	s_nop 0
	v_cndmask_b32_e32 v9, v8, v9, vcc
	v_cmp_ne_u32_e32 vcc, 0, v3
	s_nop 1
	v_cndmask_b32_e64 v3, 0, 1, vcc
	v_lshl_or_b32 v3, v3, 9, v8
	v_cmp_eq_u32_e32 vcc, s15, v10
	s_nop 1
	v_cndmask_b32_e32 v3, v9, v3, vcc
	v_and_b32_sdwa v9, v11, s16 dst_sel:DWORD dst_unused:UNUSED_PAD src0_sel:WORD_1 src1_sel:DWORD
	v_cvt_f64_f32_e32 v[10:11], v6
	v_mul_f64 v[10:11], v[10:11], s[6:7]
	v_and_or_b32 v6, v11, s10, v10
	v_cmp_ne_u32_e32 vcc, 0, v6
	v_lshrrev_b32_e32 v10, 8, v11
	v_bfe_u32 v12, v11, 20, 11
	v_cndmask_b32_e64 v6, 0, 1, vcc
	v_and_or_b32 v6, v10, s14, v6
	v_sub_u32_e32 v13, 0x3f1, v12
	v_or_b32_e32 v10, 0x1000, v6
	v_med3_i32 v13, v13, 0, 13
	v_lshrrev_b32_e32 v14, v13, v10
	v_lshlrev_b32_e32 v13, v13, v14
	v_cmp_ne_u32_e32 vcc, v13, v10
	v_add_u32_e32 v12, 0xfffffc10, v12
	v_lshl_or_b32 v13, v12, 12, v6
	v_cndmask_b32_e64 v10, 0, 1, vcc
	v_or_b32_e32 v10, v14, v10
	v_cmp_gt_i32_e32 vcc, 1, v12
	v_lshrrev_b32_e32 v11, 16, v11
	v_bitop3_b32 v3, v9, s2, v3 bitop3:0xc8
	v_cndmask_b32_e32 v10, v13, v10, vcc
	v_and_b32_e32 v13, 7, v10
	v_cmp_lt_i32_e32 vcc, 5, v13
	v_cmp_eq_u32_e64 s[0:1], 3, v13
	v_lshrrev_b32_e32 v10, 2, v10
	s_or_b64 vcc, s[0:1], vcc
	v_addc_co_u32_e32 v10, vcc, 0, v10, vcc
	v_cmp_gt_i32_e32 vcc, 31, v12
	v_mad_u64_u32 v[4:5], s[0:1], s8, v2, v[4:5]
	s_nop 0
	v_cndmask_b32_e32 v10, v8, v10, vcc
	v_cmp_ne_u32_e32 vcc, 0, v6
	v_add_u32_e32 v5, s3, v5
	s_nop 0
	v_cndmask_b32_e64 v6, 0, 1, vcc
	v_lshl_or_b32 v6, v6, 9, v8
	v_cmp_eq_u32_e32 vcc, s15, v12
	s_nop 1
	v_cndmask_b32_e32 v10, v10, v6, vcc
	v_add_u32_e32 v6, 0x1800, v7
	ds_read2_b32 v[6:7], v6 offset0:48 offset1:192
	v_and_or_b32 v10, v11, s16, v10
	v_lshl_or_b32 v3, v10, 16, v3
	global_store_dword v[4:5], v3, off
	s_waitcnt lgkmcnt(0)
	v_lshrrev_b32_e32 v9, 16, v6
	v_mul_f16_sdwa v10, v9, v19 dst_sel:DWORD dst_unused:UNUSED_PAD src0_sel:DWORD src1_sel:WORD_1
	v_fma_f16 v10, v6, v19, v10
	v_cvt_f32_f16_e32 v10, v10
	v_mul_f16_sdwa v6, v6, v19 dst_sel:DWORD dst_unused:UNUSED_PAD src0_sel:DWORD src1_sel:WORD_1
	v_fma_f16 v6, v19, v9, -v6
	v_cvt_f32_f16_e32 v6, v6
	v_cvt_f64_f32_e32 v[10:11], v10
	v_mul_f64 v[10:11], v[10:11], s[6:7]
	v_and_or_b32 v3, v11, s10, v10
	v_cmp_ne_u32_e32 vcc, 0, v3
	v_lshrrev_b32_e32 v10, 8, v11
	v_bfe_u32 v12, v11, 20, 11
	v_cndmask_b32_e64 v3, 0, 1, vcc
	v_and_or_b32 v3, v10, s14, v3
	v_sub_u32_e32 v13, 0x3f1, v12
	v_or_b32_e32 v10, 0x1000, v3
	v_med3_i32 v13, v13, 0, 13
	v_lshrrev_b32_e32 v14, v13, v10
	v_lshlrev_b32_e32 v13, v13, v14
	v_cmp_ne_u32_e32 vcc, v13, v10
	v_add_u32_e32 v12, 0xfffffc10, v12
	v_lshl_or_b32 v13, v12, 12, v3
	v_cndmask_b32_e64 v10, 0, 1, vcc
	v_or_b32_e32 v10, v14, v10
	v_cmp_gt_i32_e32 vcc, 1, v12
	v_and_b32_sdwa v9, v11, s16 dst_sel:DWORD dst_unused:UNUSED_PAD src0_sel:WORD_1 src1_sel:DWORD
	s_nop 0
	v_cndmask_b32_e32 v10, v13, v10, vcc
	v_and_b32_e32 v13, 7, v10
	v_cmp_lt_i32_e32 vcc, 5, v13
	v_cmp_eq_u32_e64 s[0:1], 3, v13
	v_lshrrev_b32_e32 v10, 2, v10
	s_or_b64 vcc, s[0:1], vcc
	v_addc_co_u32_e32 v10, vcc, 0, v10, vcc
	v_cmp_gt_i32_e32 vcc, 31, v12
	s_nop 1
	v_cndmask_b32_e32 v10, v8, v10, vcc
	v_cmp_ne_u32_e32 vcc, 0, v3
	s_nop 1
	v_cndmask_b32_e64 v3, 0, 1, vcc
	v_lshl_or_b32 v3, v3, 9, v8
	v_cmp_eq_u32_e32 vcc, s15, v12
	s_nop 1
	v_cndmask_b32_e32 v3, v10, v3, vcc
	v_cvt_f64_f32_e32 v[10:11], v6
	v_mul_f64 v[10:11], v[10:11], s[6:7]
	v_and_or_b32 v6, v11, s10, v10
	v_cmp_ne_u32_e32 vcc, 0, v6
	v_lshrrev_b32_e32 v10, 8, v11
	v_bfe_u32 v12, v11, 20, 11
	v_cndmask_b32_e64 v6, 0, 1, vcc
	v_and_or_b32 v6, v10, s14, v6
	v_sub_u32_e32 v13, 0x3f1, v12
	v_or_b32_e32 v10, 0x1000, v6
	v_med3_i32 v13, v13, 0, 13
	v_lshrrev_b32_e32 v14, v13, v10
	v_lshlrev_b32_e32 v13, v13, v14
	v_cmp_ne_u32_e32 vcc, v13, v10
	v_add_u32_e32 v12, 0xfffffc10, v12
	v_lshl_or_b32 v13, v12, 12, v6
	v_cndmask_b32_e64 v10, 0, 1, vcc
	v_or_b32_e32 v10, v14, v10
	v_cmp_gt_i32_e32 vcc, 1, v12
	v_bitop3_b32 v3, v9, s2, v3 bitop3:0xc8
	s_nop 0
	v_cndmask_b32_e32 v10, v13, v10, vcc
	v_and_b32_e32 v13, 7, v10
	v_cmp_lt_i32_e32 vcc, 5, v13
	v_cmp_eq_u32_e64 s[0:1], 3, v13
	v_lshrrev_b32_e32 v10, 2, v10
	s_or_b64 vcc, s[0:1], vcc
	v_addc_co_u32_e32 v10, vcc, 0, v10, vcc
	v_cmp_gt_i32_e32 vcc, 31, v12
	v_mad_u64_u32 v[4:5], s[0:1], s8, v2, v[4:5]
	s_nop 0
	v_cndmask_b32_e32 v10, v8, v10, vcc
	v_cmp_ne_u32_e32 vcc, 0, v6
	v_add_u32_e32 v5, s3, v5
	s_nop 0
	v_cndmask_b32_e64 v6, 0, 1, vcc
	v_lshl_or_b32 v6, v6, 9, v8
	v_cmp_eq_u32_e32 vcc, s15, v12
	s_nop 1
	v_cndmask_b32_e32 v6, v10, v6, vcc
	v_lshrrev_b32_e32 v10, 16, v11
	v_and_or_b32 v6, v10, s16, v6
	v_lshl_or_b32 v3, v6, 16, v3
	global_store_dword v[4:5], v3, off
	global_load_dword v3, v[0:1], off offset:2816
	v_lshrrev_b32_e32 v6, 16, v7
	s_waitcnt vmcnt(0)
	v_mul_f16_sdwa v0, v6, v3 dst_sel:DWORD dst_unused:UNUSED_PAD src0_sel:DWORD src1_sel:WORD_1
	v_fma_f16 v0, v7, v3, v0
	v_cvt_f32_f16_e32 v0, v0
	v_mul_f16_sdwa v7, v7, v3 dst_sel:DWORD dst_unused:UNUSED_PAD src0_sel:DWORD src1_sel:WORD_1
	v_fma_f16 v3, v3, v6, -v7
	v_cvt_f32_f16_e32 v3, v3
	v_cvt_f64_f32_e32 v[0:1], v0
	v_mul_f64 v[0:1], v[0:1], s[6:7]
	v_and_or_b32 v0, v1, s10, v0
	v_cmp_ne_u32_e32 vcc, 0, v0
	v_lshrrev_b32_e32 v9, 8, v1
	v_bfe_u32 v10, v1, 20, 11
	v_cndmask_b32_e64 v0, 0, 1, vcc
	v_and_or_b32 v0, v9, s14, v0
	v_sub_u32_e32 v11, 0x3f1, v10
	v_or_b32_e32 v9, 0x1000, v0
	v_med3_i32 v11, v11, 0, 13
	v_lshrrev_b32_e32 v12, v11, v9
	v_lshlrev_b32_e32 v11, v11, v12
	v_cmp_ne_u32_e32 vcc, v11, v9
	v_add_u32_e32 v10, 0xfffffc10, v10
	v_lshl_or_b32 v11, v10, 12, v0
	v_cndmask_b32_e64 v9, 0, 1, vcc
	v_or_b32_e32 v9, v12, v9
	v_cmp_gt_i32_e32 vcc, 1, v10
	v_and_b32_sdwa v7, v1, s16 dst_sel:DWORD dst_unused:UNUSED_PAD src0_sel:WORD_1 src1_sel:DWORD
	s_nop 0
	v_cndmask_b32_e32 v9, v11, v9, vcc
	v_and_b32_e32 v11, 7, v9
	v_cmp_lt_i32_e32 vcc, 5, v11
	v_cmp_eq_u32_e64 s[0:1], 3, v11
	v_lshrrev_b32_e32 v9, 2, v9
	s_or_b64 vcc, s[0:1], vcc
	v_addc_co_u32_e32 v9, vcc, 0, v9, vcc
	v_cmp_gt_i32_e32 vcc, 31, v10
	s_nop 1
	v_cndmask_b32_e32 v9, v8, v9, vcc
	v_cmp_ne_u32_e32 vcc, 0, v0
	s_nop 1
	v_cndmask_b32_e64 v0, 0, 1, vcc
	v_lshl_or_b32 v0, v0, 9, v8
	v_cmp_eq_u32_e32 vcc, s15, v10
	s_nop 1
	v_cndmask_b32_e32 v6, v9, v0, vcc
	v_cvt_f64_f32_e32 v[0:1], v3
	v_mul_f64 v[0:1], v[0:1], s[6:7]
	v_and_or_b32 v0, v1, s10, v0
	v_cmp_ne_u32_e32 vcc, 0, v0
	v_lshrrev_b32_e32 v3, 8, v1
	v_bfe_u32 v9, v1, 20, 11
	v_cndmask_b32_e64 v0, 0, 1, vcc
	v_and_or_b32 v0, v3, s14, v0
	v_sub_u32_e32 v10, 0x3f1, v9
	v_or_b32_e32 v3, 0x1000, v0
	v_med3_i32 v10, v10, 0, 13
	v_lshrrev_b32_e32 v11, v10, v3
	v_lshlrev_b32_e32 v10, v10, v11
	v_cmp_ne_u32_e32 vcc, v10, v3
	v_add_u32_e32 v9, 0xfffffc10, v9
	v_lshl_or_b32 v10, v9, 12, v0
	v_cndmask_b32_e64 v3, 0, 1, vcc
	v_or_b32_e32 v3, v11, v3
	v_cmp_gt_i32_e32 vcc, 1, v9
	v_lshrrev_b32_e32 v1, 16, v1
	s_nop 0
	v_cndmask_b32_e32 v3, v10, v3, vcc
	v_and_b32_e32 v10, 7, v3
	v_cmp_lt_i32_e32 vcc, 5, v10
	v_cmp_eq_u32_e64 s[0:1], 3, v10
	v_lshrrev_b32_e32 v3, 2, v3
	s_or_b64 vcc, s[0:1], vcc
	v_addc_co_u32_e32 v3, vcc, 0, v3, vcc
	v_cmp_gt_i32_e32 vcc, 31, v9
	s_nop 1
	v_cndmask_b32_e32 v3, v8, v3, vcc
	v_cmp_ne_u32_e32 vcc, 0, v0
	s_nop 1
	v_cndmask_b32_e64 v0, 0, 1, vcc
	v_lshl_or_b32 v0, v0, 9, v8
	v_cmp_eq_u32_e32 vcc, s15, v9
	s_nop 1
	v_cndmask_b32_e32 v0, v3, v0, vcc
	v_and_or_b32 v0, v1, s16, v0
	v_bitop3_b32 v1, v7, s2, v6 bitop3:0xc8
	v_lshl_or_b32 v3, v0, 16, v1
	v_mad_u64_u32 v[0:1], s[0:1], s8, v2, v[4:5]
	v_add_u32_e32 v1, s3, v1
	global_store_dword v[0:1], v3, off
.LBB0_15:
	s_endpgm
	.section	.rodata,"a",@progbits
	.p2align	6, 0x0
	.amdhsa_kernel bluestein_single_back_len1872_dim1_half_op_CI_CI
		.amdhsa_group_segment_fixed_size 7488
		.amdhsa_private_segment_fixed_size 0
		.amdhsa_kernarg_size 104
		.amdhsa_user_sgpr_count 2
		.amdhsa_user_sgpr_dispatch_ptr 0
		.amdhsa_user_sgpr_queue_ptr 0
		.amdhsa_user_sgpr_kernarg_segment_ptr 1
		.amdhsa_user_sgpr_dispatch_id 0
		.amdhsa_user_sgpr_kernarg_preload_length 0
		.amdhsa_user_sgpr_kernarg_preload_offset 0
		.amdhsa_user_sgpr_private_segment_size 0
		.amdhsa_uses_dynamic_stack 0
		.amdhsa_enable_private_segment 0
		.amdhsa_system_sgpr_workgroup_id_x 1
		.amdhsa_system_sgpr_workgroup_id_y 0
		.amdhsa_system_sgpr_workgroup_id_z 0
		.amdhsa_system_sgpr_workgroup_info 0
		.amdhsa_system_vgpr_workitem_id 0
		.amdhsa_next_free_vgpr 162
		.amdhsa_next_free_sgpr 29
		.amdhsa_accum_offset 164
		.amdhsa_reserve_vcc 1
		.amdhsa_float_round_mode_32 0
		.amdhsa_float_round_mode_16_64 0
		.amdhsa_float_denorm_mode_32 3
		.amdhsa_float_denorm_mode_16_64 3
		.amdhsa_dx10_clamp 1
		.amdhsa_ieee_mode 1
		.amdhsa_fp16_overflow 0
		.amdhsa_tg_split 0
		.amdhsa_exception_fp_ieee_invalid_op 0
		.amdhsa_exception_fp_denorm_src 0
		.amdhsa_exception_fp_ieee_div_zero 0
		.amdhsa_exception_fp_ieee_overflow 0
		.amdhsa_exception_fp_ieee_underflow 0
		.amdhsa_exception_fp_ieee_inexact 0
		.amdhsa_exception_int_div_zero 0
	.end_amdhsa_kernel
	.text
.Lfunc_end0:
	.size	bluestein_single_back_len1872_dim1_half_op_CI_CI, .Lfunc_end0-bluestein_single_back_len1872_dim1_half_op_CI_CI
                                        ; -- End function
	.section	.AMDGPU.csdata,"",@progbits
; Kernel info:
; codeLenInByte = 23144
; NumSgprs: 35
; NumVgprs: 162
; NumAgprs: 0
; TotalNumVgprs: 162
; ScratchSize: 0
; MemoryBound: 0
; FloatMode: 240
; IeeeMode: 1
; LDSByteSize: 7488 bytes/workgroup (compile time only)
; SGPRBlocks: 4
; VGPRBlocks: 20
; NumSGPRsForWavesPerEU: 35
; NumVGPRsForWavesPerEU: 162
; AccumOffset: 164
; Occupancy: 3
; WaveLimiterHint : 1
; COMPUTE_PGM_RSRC2:SCRATCH_EN: 0
; COMPUTE_PGM_RSRC2:USER_SGPR: 2
; COMPUTE_PGM_RSRC2:TRAP_HANDLER: 0
; COMPUTE_PGM_RSRC2:TGID_X_EN: 1
; COMPUTE_PGM_RSRC2:TGID_Y_EN: 0
; COMPUTE_PGM_RSRC2:TGID_Z_EN: 0
; COMPUTE_PGM_RSRC2:TIDIG_COMP_CNT: 0
; COMPUTE_PGM_RSRC3_GFX90A:ACCUM_OFFSET: 40
; COMPUTE_PGM_RSRC3_GFX90A:TG_SPLIT: 0
	.text
	.p2alignl 6, 3212836864
	.fill 256, 4, 3212836864
	.type	__hip_cuid_92ec954c1d705d34,@object ; @__hip_cuid_92ec954c1d705d34
	.section	.bss,"aw",@nobits
	.globl	__hip_cuid_92ec954c1d705d34
__hip_cuid_92ec954c1d705d34:
	.byte	0                               ; 0x0
	.size	__hip_cuid_92ec954c1d705d34, 1

	.ident	"AMD clang version 19.0.0git (https://github.com/RadeonOpenCompute/llvm-project roc-6.4.0 25133 c7fe45cf4b819c5991fe208aaa96edf142730f1d)"
	.section	".note.GNU-stack","",@progbits
	.addrsig
	.addrsig_sym __hip_cuid_92ec954c1d705d34
	.amdgpu_metadata
---
amdhsa.kernels:
  - .agpr_count:     0
    .args:
      - .actual_access:  read_only
        .address_space:  global
        .offset:         0
        .size:           8
        .value_kind:     global_buffer
      - .actual_access:  read_only
        .address_space:  global
        .offset:         8
        .size:           8
        .value_kind:     global_buffer
      - .actual_access:  read_only
        .address_space:  global
        .offset:         16
        .size:           8
        .value_kind:     global_buffer
      - .actual_access:  read_only
        .address_space:  global
        .offset:         24
        .size:           8
        .value_kind:     global_buffer
      - .actual_access:  read_only
        .address_space:  global
        .offset:         32
        .size:           8
        .value_kind:     global_buffer
      - .offset:         40
        .size:           8
        .value_kind:     by_value
      - .address_space:  global
        .offset:         48
        .size:           8
        .value_kind:     global_buffer
      - .address_space:  global
        .offset:         56
        .size:           8
        .value_kind:     global_buffer
      - .address_space:  global
        .offset:         64
        .size:           8
        .value_kind:     global_buffer
      - .address_space:  global
        .offset:         72
        .size:           8
        .value_kind:     global_buffer
      - .offset:         80
        .size:           4
        .value_kind:     by_value
      - .address_space:  global
        .offset:         88
        .size:           8
        .value_kind:     global_buffer
      - .address_space:  global
        .offset:         96
        .size:           8
        .value_kind:     global_buffer
    .group_segment_fixed_size: 7488
    .kernarg_segment_align: 8
    .kernarg_segment_size: 104
    .language:       OpenCL C
    .language_version:
      - 2
      - 0
    .max_flat_workgroup_size: 156
    .name:           bluestein_single_back_len1872_dim1_half_op_CI_CI
    .private_segment_fixed_size: 0
    .sgpr_count:     35
    .sgpr_spill_count: 0
    .symbol:         bluestein_single_back_len1872_dim1_half_op_CI_CI.kd
    .uniform_work_group_size: 1
    .uses_dynamic_stack: false
    .vgpr_count:     162
    .vgpr_spill_count: 0
    .wavefront_size: 64
amdhsa.target:   amdgcn-amd-amdhsa--gfx950
amdhsa.version:
  - 1
  - 2
...

	.end_amdgpu_metadata
